;; amdgpu-corpus repo=zjin-lcf/HeCBench kind=compiled arch=gfx1030 opt=O3
	.amdgcn_target "amdgcn-amd-amdhsa--gfx1030"
	.amdhsa_code_object_version 6
	.text
	.protected	_Z19kernel_baseToNumberPcl ; -- Begin function _Z19kernel_baseToNumberPcl
	.globl	_Z19kernel_baseToNumberPcl
	.p2align	8
	.type	_Z19kernel_baseToNumberPcl,@function
_Z19kernel_baseToNumberPcl:             ; @_Z19kernel_baseToNumberPcl
; %bb.0:
	s_clause 0x1
	s_load_dword s0, s[4:5], 0x1c
	s_load_dwordx4 s[8:11], s[4:5], 0x0
	s_waitcnt lgkmcnt(0)
	s_and_b32 s0, s0, 0xffff
	v_mad_u64_u32 v[0:1], null, s6, s0, v[0:1]
	v_mov_b32_e32 v1, 0
	s_mov_b32 s0, exec_lo
	v_cmpx_gt_i64_e64 s[10:11], v[0:1]
	s_cbranch_execz .LBB0_44
; %bb.1:
	v_not_b32_e32 v2, v0
	s_mov_b32 s12, exec_lo
	v_add_co_u32 v2, s0, s10, v2
	v_add_co_ci_u32_e64 v3, null, s11, -1, s0
	s_mov_b32 s0, -1
	v_cmpx_lt_u64_e32 0xbfff, v[2:3]
	s_cbranch_execz .LBB0_5
; %bb.2:
	v_lshrrev_b64 v[1:2], 14, v[2:3]
	v_add_co_u32 v5, s0, s8, v0
	v_add_co_ci_u32_e64 v6, null, s9, 0, s0
	s_mov_b32 s13, 0
	v_add_co_u32 v1, vcc_lo, v1, 1
	v_add_co_ci_u32_e64 v2, null, 0, v2, vcc_lo
	v_and_b32_e32 v3, -4, v1
	v_mov_b32_e32 v4, v2
	v_mov_b32_e32 v8, v4
	;; [unrolled: 1-line block ×3, first 2 shown]
.LBB0_3:                                ; =>This Inner Loop Header: Depth=1
	v_add_co_u32 v9, vcc_lo, 0x4000, v5
	v_add_co_ci_u32_e64 v10, null, 0, v6, vcc_lo
	v_add_co_u32 v11, vcc_lo, 0xc000, v5
	v_add_co_ci_u32_e64 v12, null, 0, v6, vcc_lo
	;; [unrolled: 2-line block ×3, first 2 shown]
	s_clause 0x3
	global_load_ubyte v15, v[5:6], off
	global_load_ubyte v16, v[9:10], off
	global_load_ubyte v17, v[11:12], off
	global_load_ubyte v18, v[13:14], off
	v_add_co_u32 v7, vcc_lo, v7, -4
	v_add_co_ci_u32_e64 v8, null, -1, v8, vcc_lo
	s_waitcnt vmcnt(3)
	v_and_b32_e32 v15, 0xdf, v15
	s_waitcnt vmcnt(2)
	v_and_b32_e32 v16, 0xdf, v16
	;; [unrolled: 2-line block ×4, first 2 shown]
	v_cmp_eq_u16_e64 s1, 0x41, v15
	v_cmp_eq_u16_e64 s7, 0x41, v16
	v_cmp_eq_u16_e32 vcc_lo, 0x54, v15
	v_cmp_eq_u16_e64 s0, 0x55, v15
	v_cmp_eq_u16_e64 s4, 0x55, v18
	v_cndmask_b32_e64 v19, 4, 0, s1
	v_cndmask_b32_e64 v20, 4, 0, s7
	v_cmp_eq_u16_e64 s7, 0x41, v17
	v_cmp_eq_u16_e64 s1, 0x54, v18
	;; [unrolled: 1-line block ×4, first 2 shown]
	s_or_b32 s0, vcc_lo, s0
	v_cndmask_b32_e64 v21, 4, 0, s7
	v_cmp_eq_u16_e64 s7, 0x41, v18
	v_cmp_eq_u16_e64 s3, 0x54, v16
	;; [unrolled: 1-line block ×3, first 2 shown]
	v_cndmask_b32_e64 v19, v19, 3, s0
	s_or_b32 s0, s1, s4
	v_cndmask_b32_e64 v22, 4, 0, s7
	v_cmp_ne_u16_e32 vcc_lo, 0x47, v15
	v_cmp_ne_u16_e64 s1, 0x47, v18
	v_cndmask_b32_e64 v22, v22, 3, s0
	s_or_b32 s0, s2, s5
	v_cndmask_b32_e32 v19, 2, v19, vcc_lo
	v_cndmask_b32_e64 v21, v21, 3, s0
	s_or_b32 s0, s3, s6
	v_cmp_ne_u16_e32 vcc_lo, 0x43, v15
	v_cndmask_b32_e64 v20, v20, 3, s0
	v_cmp_ne_u16_e64 s0, 0x47, v17
	v_cmp_ne_u16_e64 s2, 0x47, v16
	v_cndmask_b32_e64 v15, 2, v20, s2
	v_cndmask_b32_e64 v20, 2, v21, s0
	v_cmp_ne_u16_e64 s0, 0x43, v17
	v_cndmask_b32_e32 v17, 1, v19, vcc_lo
	v_cmp_ne_u16_e32 vcc_lo, 0x43, v16
	v_cndmask_b32_e64 v21, 2, v22, s1
	v_cndmask_b32_e64 v16, 1, v20, s0
	global_store_byte v[5:6], v17, off
	v_cndmask_b32_e32 v15, 1, v15, vcc_lo
	v_cmp_ne_u16_e32 vcc_lo, 0x43, v18
	v_add_co_u32 v5, s0, 0x10000, v5
	v_lshlrev_b16 v16, 8, v16
	v_lshlrev_b16 v15, 8, v15
	v_cndmask_b32_e32 v18, 1, v21, vcc_lo
	v_cmp_eq_u64_e32 vcc_lo, 0, v[7:8]
	v_add_co_ci_u32_e64 v6, null, 0, v6, s0
	v_or_b32_e32 v15, v17, v15
	v_or_b32_e32 v16, v18, v16
	s_or_b32 s13, vcc_lo, s13
	v_lshrrev_b32_e32 v15, 8, v15
	v_lshrrev_b32_e32 v16, 8, v16
	global_store_byte v[13:14], v18, off
	global_store_byte v[9:10], v15, off
	;; [unrolled: 1-line block ×3, first 2 shown]
	s_andn2_b32 exec_lo, exec_lo, s13
	s_cbranch_execnz .LBB0_3
; %bb.4:
	s_or_b32 exec_lo, exec_lo, s13
	v_lshlrev_b64 v[5:6], 14, v[3:4]
	v_cmp_ne_u64_e32 vcc_lo, v[1:2], v[3:4]
	v_add_co_u32 v0, s0, v5, v0
	v_add_co_ci_u32_e64 v1, null, 0, v6, s0
	s_orn2_b32 s0, vcc_lo, exec_lo
.LBB0_5:
	s_or_b32 exec_lo, exec_lo, s12
	s_and_b32 exec_lo, exec_lo, s0
	s_cbranch_execz .LBB0_44
; %bb.6:
	s_mov_b32 s1, 0
	s_branch .LBB0_8
.LBB0_7:                                ;   in Loop: Header=BB0_8 Depth=1
	s_or_b32 exec_lo, exec_lo, s0
	v_add_co_u32 v0, vcc_lo, 0x4000, v0
	v_add_co_ci_u32_e64 v1, null, 0, v1, vcc_lo
	global_store_byte v[2:3], v5, off
	v_cmp_le_i64_e32 vcc_lo, s[10:11], v[0:1]
	s_or_b32 s1, vcc_lo, s1
	s_andn2_b32 exec_lo, exec_lo, s1
	s_cbranch_execz .LBB0_44
.LBB0_8:                                ; =>This Inner Loop Header: Depth=1
	v_add_co_u32 v2, vcc_lo, s8, v0
	v_add_co_ci_u32_e64 v3, null, s9, v1, vcc_lo
	s_mov_b32 s0, 0
	s_mov_b32 s6, 0
	;; [unrolled: 1-line block ×3, first 2 shown]
	global_load_ubyte v4, v[2:3], off
	s_mov_b32 s3, 0
	s_mov_b32 s2, 0
	s_mov_b32 s5, exec_lo
	s_waitcnt vmcnt(0)
	v_cmpx_lt_i16_e32 0x60, v4
	s_xor_b32 s5, exec_lo, s5
	s_cbranch_execnz .LBB0_17
; %bb.9:                                ;   in Loop: Header=BB0_8 Depth=1
	s_or_saveexec_b32 s5, s5
	s_mov_b32 s7, 0
	s_xor_b32 exec_lo, exec_lo, s5
	s_cbranch_execnz .LBB0_30
.LBB0_10:                               ;   in Loop: Header=BB0_8 Depth=1
	s_or_b32 exec_lo, exec_lo, s5
	v_mov_b32_e32 v5, 0
	s_and_saveexec_b32 s5, s6
	s_cbranch_execnz .LBB0_35
.LBB0_11:                               ;   in Loop: Header=BB0_8 Depth=1
	s_or_b32 exec_lo, exec_lo, s5
	s_and_saveexec_b32 s5, s0
	s_cbranch_execnz .LBB0_36
.LBB0_12:                               ;   in Loop: Header=BB0_8 Depth=1
	s_or_b32 exec_lo, exec_lo, s5
	s_and_saveexec_b32 s0, s4
	s_xor_b32 s0, exec_lo, s0
	s_cbranch_execnz .LBB0_37
.LBB0_13:                               ;   in Loop: Header=BB0_8 Depth=1
	s_or_b32 exec_lo, exec_lo, s0
	s_mov_b32 s0, 0
	s_and_saveexec_b32 s4, s7
	s_cbranch_execnz .LBB0_38
.LBB0_14:                               ;   in Loop: Header=BB0_8 Depth=1
	s_or_b32 exec_lo, exec_lo, s4
	s_and_saveexec_b32 s4, s3
	s_cbranch_execnz .LBB0_41
.LBB0_15:                               ;   in Loop: Header=BB0_8 Depth=1
	s_or_b32 exec_lo, exec_lo, s4
	s_and_saveexec_b32 s3, s0
	s_cbranch_execnz .LBB0_42
.LBB0_16:                               ;   in Loop: Header=BB0_8 Depth=1
	s_or_b32 exec_lo, exec_lo, s3
	s_and_saveexec_b32 s0, s2
	s_cbranch_execz .LBB0_7
	s_branch .LBB0_43
.LBB0_17:                               ;   in Loop: Header=BB0_8 Depth=1
	s_mov_b32 s7, exec_lo
	v_cmpx_lt_i16_e32 0x66, v4
	s_xor_b32 s7, exec_lo, s7
	s_cbranch_execz .LBB0_23
; %bb.18:                               ;   in Loop: Header=BB0_8 Depth=1
	s_mov_b32 s12, exec_lo
	v_cmpx_lt_i16_e32 0x73, v4
	s_xor_b32 s12, exec_lo, s12
; %bb.19:                               ;   in Loop: Header=BB0_8 Depth=1
	v_cmp_gt_i16_e32 vcc_lo, 0x76, v4
	s_mov_b32 s2, exec_lo
	s_and_b32 s6, vcc_lo, exec_lo
; %bb.20:                               ;   in Loop: Header=BB0_8 Depth=1
	s_andn2_saveexec_b32 s12, s12
; %bb.21:                               ;   in Loop: Header=BB0_8 Depth=1
	v_cmp_eq_u16_e32 vcc_lo, 0x67, v4
	s_or_b32 s2, s2, exec_lo
	s_and_b32 s4, vcc_lo, exec_lo
; %bb.22:                               ;   in Loop: Header=BB0_8 Depth=1
	s_or_b32 exec_lo, exec_lo, s12
	s_and_b32 s2, s2, exec_lo
	s_and_b32 s4, s4, exec_lo
	;; [unrolled: 1-line block ×3, first 2 shown]
.LBB0_23:                               ;   in Loop: Header=BB0_8 Depth=1
	s_andn2_saveexec_b32 s7, s7
	s_cbranch_execz .LBB0_29
; %bb.24:                               ;   in Loop: Header=BB0_8 Depth=1
	s_mov_b32 s12, s2
	s_mov_b32 s13, exec_lo
	v_cmpx_lt_i16_e32 0x62, v4
	s_xor_b32 s13, exec_lo, s13
; %bb.25:                               ;   in Loop: Header=BB0_8 Depth=1
	v_cmp_eq_u16_e32 vcc_lo, 0x63, v4
	s_or_b32 s12, s2, exec_lo
	s_and_b32 s3, vcc_lo, exec_lo
; %bb.26:                               ;   in Loop: Header=BB0_8 Depth=1
	s_andn2_saveexec_b32 s13, s13
; %bb.27:                               ;   in Loop: Header=BB0_8 Depth=1
	v_cmp_ne_u16_e32 vcc_lo, 0x61, v4
	s_andn2_b32 s12, s12, exec_lo
	s_and_b32 s14, vcc_lo, exec_lo
	s_or_b32 s12, s12, s14
; %bb.28:                               ;   in Loop: Header=BB0_8 Depth=1
	s_or_b32 exec_lo, exec_lo, s13
	s_andn2_b32 s2, s2, exec_lo
	s_and_b32 s12, s12, exec_lo
	s_and_b32 s3, s3, exec_lo
	s_or_b32 s2, s2, s12
.LBB0_29:                               ;   in Loop: Header=BB0_8 Depth=1
	s_or_b32 exec_lo, exec_lo, s7
	s_and_b32 s2, s2, exec_lo
	s_and_b32 s3, s3, exec_lo
	;; [unrolled: 1-line block ×4, first 2 shown]
	s_or_saveexec_b32 s5, s5
	s_mov_b32 s7, 0
	s_xor_b32 exec_lo, exec_lo, s5
	s_cbranch_execz .LBB0_10
.LBB0_30:                               ;   in Loop: Header=BB0_8 Depth=1
	s_mov_b32 s13, -1
	s_mov_b32 s12, s6
	s_mov_b32 s14, s2
	s_mov_b32 s7, exec_lo
	v_cmpx_lt_i16_e32 0x46, v4
	s_cbranch_execz .LBB0_34
; %bb.31:                               ;   in Loop: Header=BB0_8 Depth=1
	s_mov_b32 s12, -1
	s_mov_b32 s0, s6
	s_mov_b32 s14, s2
	s_mov_b32 s13, exec_lo
	v_cmpx_lt_i16_e32 0x53, v4
; %bb.32:                               ;   in Loop: Header=BB0_8 Depth=1
	v_cmp_lt_i16_e32 vcc_lo, 0x55, v4
	v_cmp_gt_i16_e64 s0, 0x56, v4
	s_andn2_b32 s14, s2, exec_lo
	s_andn2_b32 s15, s6, exec_lo
	s_xor_b32 s12, exec_lo, -1
	s_and_b32 s16, vcc_lo, exec_lo
	s_and_b32 s0, s0, exec_lo
	s_or_b32 s14, s14, s16
	s_or_b32 s0, s15, s0
; %bb.33:                               ;   in Loop: Header=BB0_8 Depth=1
	s_or_b32 exec_lo, exec_lo, s13
	s_andn2_b32 s13, s2, exec_lo
	s_and_b32 s14, s14, exec_lo
	s_andn2_b32 s15, s6, exec_lo
	s_and_b32 s16, s0, exec_lo
	s_or_b32 s14, s13, s14
	s_xor_b32 s13, exec_lo, -1
	s_and_b32 s0, s12, exec_lo
	s_or_b32 s12, s15, s16
.LBB0_34:                               ;   in Loop: Header=BB0_8 Depth=1
	s_or_b32 exec_lo, exec_lo, s7
	s_andn2_b32 s2, s2, exec_lo
	s_and_b32 s7, s14, exec_lo
	s_andn2_b32 s6, s6, exec_lo
	s_and_b32 s12, s12, exec_lo
	s_or_b32 s2, s2, s7
	s_and_b32 s7, s13, exec_lo
	s_and_b32 s0, s0, exec_lo
	s_or_b32 s6, s6, s12
	s_or_b32 exec_lo, exec_lo, s5
	v_mov_b32_e32 v5, 0
	s_and_saveexec_b32 s5, s6
	s_cbranch_execz .LBB0_11
.LBB0_35:                               ;   in Loop: Header=BB0_8 Depth=1
	v_mov_b32_e32 v5, 3
	s_andn2_b32 s2, s2, exec_lo
	s_or_b32 exec_lo, exec_lo, s5
	s_and_saveexec_b32 s5, s0
	s_cbranch_execz .LBB0_12
.LBB0_36:                               ;   in Loop: Header=BB0_8 Depth=1
	v_cmp_ne_u16_e32 vcc_lo, 0x47, v4
	v_cmp_eq_u16_e64 s0, 0x47, v4
	s_andn2_b32 s2, s2, exec_lo
	s_andn2_b32 s4, s4, exec_lo
	s_and_b32 s6, vcc_lo, exec_lo
	s_and_b32 s0, s0, exec_lo
	s_or_b32 s2, s2, s6
	s_or_b32 s4, s4, s0
	s_or_b32 exec_lo, exec_lo, s5
	s_and_saveexec_b32 s0, s4
	s_xor_b32 s0, exec_lo, s0
	s_cbranch_execz .LBB0_13
.LBB0_37:                               ;   in Loop: Header=BB0_8 Depth=1
	v_mov_b32_e32 v5, 2
	s_andn2_b32 s2, s2, exec_lo
	s_or_b32 exec_lo, exec_lo, s0
	s_mov_b32 s0, 0
	s_and_saveexec_b32 s4, s7
	s_cbranch_execz .LBB0_14
.LBB0_38:                               ;   in Loop: Header=BB0_8 Depth=1
	s_mov_b32 s5, -1
	s_mov_b32 s0, s3
	s_mov_b32 s7, s2
	s_mov_b32 s6, exec_lo
	v_cmpx_lt_i16_e32 0x42, v4
; %bb.39:                               ;   in Loop: Header=BB0_8 Depth=1
	v_cmp_ne_u16_e32 vcc_lo, 0x43, v4
	v_cmp_eq_u16_e64 s0, 0x43, v4
	s_andn2_b32 s7, s2, exec_lo
	s_andn2_b32 s12, s3, exec_lo
	s_xor_b32 s5, exec_lo, -1
	s_and_b32 s13, vcc_lo, exec_lo
	s_and_b32 s0, s0, exec_lo
	s_or_b32 s7, s7, s13
	s_or_b32 s0, s12, s0
; %bb.40:                               ;   in Loop: Header=BB0_8 Depth=1
	s_or_b32 exec_lo, exec_lo, s6
	s_andn2_b32 s2, s2, exec_lo
	s_and_b32 s6, s7, exec_lo
	s_andn2_b32 s3, s3, exec_lo
	s_or_b32 s2, s2, s6
	s_and_b32 s6, s0, exec_lo
	s_and_b32 s0, s5, exec_lo
	s_or_b32 s3, s3, s6
	s_or_b32 exec_lo, exec_lo, s4
	s_and_saveexec_b32 s4, s3
	s_cbranch_execz .LBB0_15
.LBB0_41:                               ;   in Loop: Header=BB0_8 Depth=1
	v_mov_b32_e32 v5, 1
	s_andn2_b32 s2, s2, exec_lo
	s_or_b32 exec_lo, exec_lo, s4
	s_and_saveexec_b32 s3, s0
	s_cbranch_execz .LBB0_16
.LBB0_42:                               ;   in Loop: Header=BB0_8 Depth=1
	v_cmp_ne_u16_e32 vcc_lo, 0x41, v4
	v_mov_b32_e32 v5, 0
	s_andn2_b32 s0, s2, exec_lo
	s_and_b32 s2, vcc_lo, exec_lo
	s_or_b32 s2, s0, s2
	s_or_b32 exec_lo, exec_lo, s3
	s_and_saveexec_b32 s0, s2
	s_cbranch_execz .LBB0_7
.LBB0_43:                               ;   in Loop: Header=BB0_8 Depth=1
	v_mov_b32_e32 v5, 4
	s_branch .LBB0_7
.LBB0_44:
	s_endpgm
	.section	.rodata,"a",@progbits
	.p2align	6, 0x0
	.amdhsa_kernel _Z19kernel_baseToNumberPcl
		.amdhsa_group_segment_fixed_size 0
		.amdhsa_private_segment_fixed_size 0
		.amdhsa_kernarg_size 272
		.amdhsa_user_sgpr_count 6
		.amdhsa_user_sgpr_private_segment_buffer 1
		.amdhsa_user_sgpr_dispatch_ptr 0
		.amdhsa_user_sgpr_queue_ptr 0
		.amdhsa_user_sgpr_kernarg_segment_ptr 1
		.amdhsa_user_sgpr_dispatch_id 0
		.amdhsa_user_sgpr_flat_scratch_init 0
		.amdhsa_user_sgpr_private_segment_size 0
		.amdhsa_wavefront_size32 1
		.amdhsa_uses_dynamic_stack 0
		.amdhsa_system_sgpr_private_segment_wavefront_offset 0
		.amdhsa_system_sgpr_workgroup_id_x 1
		.amdhsa_system_sgpr_workgroup_id_y 0
		.amdhsa_system_sgpr_workgroup_id_z 0
		.amdhsa_system_sgpr_workgroup_info 0
		.amdhsa_system_vgpr_workitem_id 0
		.amdhsa_next_free_vgpr 23
		.amdhsa_next_free_sgpr 17
		.amdhsa_reserve_vcc 1
		.amdhsa_reserve_flat_scratch 0
		.amdhsa_float_round_mode_32 0
		.amdhsa_float_round_mode_16_64 0
		.amdhsa_float_denorm_mode_32 3
		.amdhsa_float_denorm_mode_16_64 3
		.amdhsa_dx10_clamp 1
		.amdhsa_ieee_mode 1
		.amdhsa_fp16_overflow 0
		.amdhsa_workgroup_processor_mode 1
		.amdhsa_memory_ordered 1
		.amdhsa_forward_progress 1
		.amdhsa_shared_vgpr_count 0
		.amdhsa_exception_fp_ieee_invalid_op 0
		.amdhsa_exception_fp_denorm_src 0
		.amdhsa_exception_fp_ieee_div_zero 0
		.amdhsa_exception_fp_ieee_overflow 0
		.amdhsa_exception_fp_ieee_underflow 0
		.amdhsa_exception_fp_ieee_inexact 0
		.amdhsa_exception_int_div_zero 0
	.end_amdhsa_kernel
	.text
.Lfunc_end0:
	.size	_Z19kernel_baseToNumberPcl, .Lfunc_end0-_Z19kernel_baseToNumberPcl
                                        ; -- End function
	.set _Z19kernel_baseToNumberPcl.num_vgpr, 23
	.set _Z19kernel_baseToNumberPcl.num_agpr, 0
	.set _Z19kernel_baseToNumberPcl.numbered_sgpr, 17
	.set _Z19kernel_baseToNumberPcl.num_named_barrier, 0
	.set _Z19kernel_baseToNumberPcl.private_seg_size, 0
	.set _Z19kernel_baseToNumberPcl.uses_vcc, 1
	.set _Z19kernel_baseToNumberPcl.uses_flat_scratch, 0
	.set _Z19kernel_baseToNumberPcl.has_dyn_sized_stack, 0
	.set _Z19kernel_baseToNumberPcl.has_recursion, 0
	.set _Z19kernel_baseToNumberPcl.has_indirect_call, 0
	.section	.AMDGPU.csdata,"",@progbits
; Kernel info:
; codeLenInByte = 1744
; TotalNumSgprs: 19
; NumVgprs: 23
; ScratchSize: 0
; MemoryBound: 0
; FloatMode: 240
; IeeeMode: 1
; LDSByteSize: 0 bytes/workgroup (compile time only)
; SGPRBlocks: 0
; VGPRBlocks: 2
; NumSGPRsForWavesPerEU: 19
; NumVGPRsForWavesPerEU: 23
; Occupancy: 16
; WaveLimiterHint : 1
; COMPUTE_PGM_RSRC2:SCRATCH_EN: 0
; COMPUTE_PGM_RSRC2:USER_SGPR: 6
; COMPUTE_PGM_RSRC2:TRAP_HANDLER: 0
; COMPUTE_PGM_RSRC2:TGID_X_EN: 1
; COMPUTE_PGM_RSRC2:TGID_Y_EN: 0
; COMPUTE_PGM_RSRC2:TGID_Z_EN: 0
; COMPUTE_PGM_RSRC2:TIDIG_COMP_CNT: 0
	.text
	.protected	_Z19kernel_compressDataPKiPKlPKcPjPii ; -- Begin function _Z19kernel_compressDataPKiPKlPKcPjPii
	.globl	_Z19kernel_compressDataPKiPKlPKcPjPii
	.p2align	8
	.type	_Z19kernel_compressDataPKiPKlPKcPjPii,@function
_Z19kernel_compressDataPKiPKlPKcPjPii:  ; @_Z19kernel_compressDataPKiPKlPKcPjPii
; %bb.0:
	s_clause 0x1
	s_load_dword s0, s[4:5], 0x3c
	s_load_dword s1, s[4:5], 0x28
	s_waitcnt lgkmcnt(0)
	s_and_b32 s0, s0, 0xffff
	v_mad_u64_u32 v[0:1], null, s6, s0, v[0:1]
	s_mov_b32 s0, exec_lo
	v_cmpx_gt_i32_e64 s1, v0
	s_cbranch_execz .LBB1_12
; %bb.1:
	s_load_dwordx8 s[8:15], s[4:5], 0x0
	v_ashrrev_i32_e32 v1, 31, v0
	s_load_dwordx2 s[0:1], s[4:5], 0x20
	v_mov_b32_e32 v10, 0
	v_mov_b32_e32 v8, 0
	;; [unrolled: 1-line block ×3, first 2 shown]
	v_lshlrev_b64 v[2:3], 3, v[0:1]
	v_lshlrev_b64 v[0:1], 2, v[0:1]
	s_mov_b32 s3, 0
	s_mov_b32 s2, exec_lo
	s_waitcnt lgkmcnt(0)
	v_add_co_u32 v2, vcc_lo, s10, v2
	v_add_co_ci_u32_e64 v3, null, s11, v3, vcc_lo
	v_add_co_u32 v4, vcc_lo, s8, v0
	v_add_co_ci_u32_e64 v5, null, s9, v1, vcc_lo
	global_load_dwordx2 v[2:3], v[2:3], off
	global_load_dword v6, v[4:5], off
	s_waitcnt vmcnt(1)
	v_ashrrev_i32_e32 v4, 31, v3
	v_lshrrev_b32_e32 v4, 28, v4
	v_add_co_u32 v4, vcc_lo, v2, v4
	v_add_co_ci_u32_e64 v5, null, 0, v3, vcc_lo
	v_ashrrev_i64 v[4:5], 4, v[4:5]
	s_waitcnt vmcnt(0)
	v_cmpx_lt_i32_e32 0, v6
	s_cbranch_execz .LBB1_11
; %bb.2:
	v_ashrrev_i32_e32 v7, 31, v6
	v_add_co_u32 v6, vcc_lo, v2, v6
	v_mov_b32_e32 v8, 0
	v_mov_b32_e32 v9, 0
	v_add_co_ci_u32_e64 v7, null, v3, v7, vcc_lo
	s_inst_prefetch 0x1
	s_branch .LBB1_5
	.p2align	6
.LBB1_3:                                ;   in Loop: Header=BB1_5 Depth=1
	s_or_b32 exec_lo, exec_lo, s5
.LBB1_4:                                ;   in Loop: Header=BB1_5 Depth=1
	s_or_b32 exec_lo, exec_lo, s4
	v_add_co_u32 v2, vcc_lo, v2, 1
	v_add_co_ci_u32_e64 v3, null, 0, v3, vcc_lo
	v_cmp_ge_i64_e32 vcc_lo, v[2:3], v[6:7]
	s_or_b32 s3, vcc_lo, s3
	s_andn2_b32 exec_lo, exec_lo, s3
	s_cbranch_execz .LBB1_10
.LBB1_5:                                ; =>This Inner Loop Header: Depth=1
	v_add_co_u32 v11, vcc_lo, s12, v2
	v_add_co_ci_u32_e64 v12, null, s13, v3, vcc_lo
	s_mov_b32 s4, exec_lo
	global_load_ubyte v11, v[11:12], off
	s_waitcnt vmcnt(0)
	v_cmpx_lt_u16_e32 3, v11
	s_xor_b32 s4, exec_lo, s4
; %bb.6:                                ;   in Loop: Header=BB1_5 Depth=1
	v_add_nc_u32_e32 v9, 1, v9
                                        ; implicit-def: $vgpr11
; %bb.7:                                ;   in Loop: Header=BB1_5 Depth=1
	s_andn2_saveexec_b32 s4, s4
	s_cbranch_execz .LBB1_4
; %bb.8:                                ;   in Loop: Header=BB1_5 Depth=1
	v_lshlrev_b32_e32 v12, 1, v10
	v_and_b32_e32 v11, 0xffff, v11
	v_add_nc_u32_e32 v10, 1, v10
	s_mov_b32 s5, exec_lo
	v_sub_nc_u32_e32 v12, 30, v12
	v_lshl_add_u32 v8, v11, v12, v8
	v_cmpx_eq_u32_e32 16, v10
	s_cbranch_execz .LBB1_3
; %bb.9:                                ;   in Loop: Header=BB1_5 Depth=1
	v_lshlrev_b64 v[10:11], 2, v[4:5]
	v_add_co_u32 v4, vcc_lo, v4, 1
	v_add_co_ci_u32_e64 v5, null, 0, v5, vcc_lo
	v_add_co_u32 v12, vcc_lo, s14, v10
	v_add_co_ci_u32_e64 v13, null, s15, v11, vcc_lo
	v_mov_b32_e32 v10, 0
	global_store_dword v[12:13], v8, off
	v_mov_b32_e32 v8, 0
	s_branch .LBB1_3
.LBB1_10:
	s_inst_prefetch 0x2
	s_or_b32 exec_lo, exec_lo, s3
.LBB1_11:
	s_or_b32 exec_lo, exec_lo, s2
	v_lshlrev_b64 v[2:3], 2, v[4:5]
	v_add_co_u32 v2, vcc_lo, s14, v2
	v_add_co_ci_u32_e64 v3, null, s15, v3, vcc_lo
	v_add_co_u32 v0, vcc_lo, s0, v0
	v_add_co_ci_u32_e64 v1, null, s1, v1, vcc_lo
	global_store_dword v[2:3], v8, off
	global_store_dword v[0:1], v9, off
.LBB1_12:
	s_endpgm
	.section	.rodata,"a",@progbits
	.p2align	6, 0x0
	.amdhsa_kernel _Z19kernel_compressDataPKiPKlPKcPjPii
		.amdhsa_group_segment_fixed_size 0
		.amdhsa_private_segment_fixed_size 0
		.amdhsa_kernarg_size 304
		.amdhsa_user_sgpr_count 6
		.amdhsa_user_sgpr_private_segment_buffer 1
		.amdhsa_user_sgpr_dispatch_ptr 0
		.amdhsa_user_sgpr_queue_ptr 0
		.amdhsa_user_sgpr_kernarg_segment_ptr 1
		.amdhsa_user_sgpr_dispatch_id 0
		.amdhsa_user_sgpr_flat_scratch_init 0
		.amdhsa_user_sgpr_private_segment_size 0
		.amdhsa_wavefront_size32 1
		.amdhsa_uses_dynamic_stack 0
		.amdhsa_system_sgpr_private_segment_wavefront_offset 0
		.amdhsa_system_sgpr_workgroup_id_x 1
		.amdhsa_system_sgpr_workgroup_id_y 0
		.amdhsa_system_sgpr_workgroup_id_z 0
		.amdhsa_system_sgpr_workgroup_info 0
		.amdhsa_system_vgpr_workitem_id 0
		.amdhsa_next_free_vgpr 14
		.amdhsa_next_free_sgpr 16
		.amdhsa_reserve_vcc 1
		.amdhsa_reserve_flat_scratch 0
		.amdhsa_float_round_mode_32 0
		.amdhsa_float_round_mode_16_64 0
		.amdhsa_float_denorm_mode_32 3
		.amdhsa_float_denorm_mode_16_64 3
		.amdhsa_dx10_clamp 1
		.amdhsa_ieee_mode 1
		.amdhsa_fp16_overflow 0
		.amdhsa_workgroup_processor_mode 1
		.amdhsa_memory_ordered 1
		.amdhsa_forward_progress 1
		.amdhsa_shared_vgpr_count 0
		.amdhsa_exception_fp_ieee_invalid_op 0
		.amdhsa_exception_fp_denorm_src 0
		.amdhsa_exception_fp_ieee_div_zero 0
		.amdhsa_exception_fp_ieee_overflow 0
		.amdhsa_exception_fp_ieee_underflow 0
		.amdhsa_exception_fp_ieee_inexact 0
		.amdhsa_exception_int_div_zero 0
	.end_amdhsa_kernel
	.text
.Lfunc_end1:
	.size	_Z19kernel_compressDataPKiPKlPKcPjPii, .Lfunc_end1-_Z19kernel_compressDataPKiPKlPKcPjPii
                                        ; -- End function
	.set _Z19kernel_compressDataPKiPKlPKcPjPii.num_vgpr, 14
	.set _Z19kernel_compressDataPKiPKlPKcPjPii.num_agpr, 0
	.set _Z19kernel_compressDataPKiPKlPKcPjPii.numbered_sgpr, 16
	.set _Z19kernel_compressDataPKiPKlPKcPjPii.num_named_barrier, 0
	.set _Z19kernel_compressDataPKiPKlPKcPjPii.private_seg_size, 0
	.set _Z19kernel_compressDataPKiPKlPKcPjPii.uses_vcc, 1
	.set _Z19kernel_compressDataPKiPKlPKcPjPii.uses_flat_scratch, 0
	.set _Z19kernel_compressDataPKiPKlPKcPjPii.has_dyn_sized_stack, 0
	.set _Z19kernel_compressDataPKiPKlPKcPjPii.has_recursion, 0
	.set _Z19kernel_compressDataPKiPKlPKcPjPii.has_indirect_call, 0
	.section	.AMDGPU.csdata,"",@progbits
; Kernel info:
; codeLenInByte = 520
; TotalNumSgprs: 18
; NumVgprs: 14
; ScratchSize: 0
; MemoryBound: 0
; FloatMode: 240
; IeeeMode: 1
; LDSByteSize: 0 bytes/workgroup (compile time only)
; SGPRBlocks: 0
; VGPRBlocks: 1
; NumSGPRsForWavesPerEU: 18
; NumVGPRsForWavesPerEU: 14
; Occupancy: 16
; WaveLimiterHint : 0
; COMPUTE_PGM_RSRC2:SCRATCH_EN: 0
; COMPUTE_PGM_RSRC2:USER_SGPR: 6
; COMPUTE_PGM_RSRC2:TRAP_HANDLER: 0
; COMPUTE_PGM_RSRC2:TGID_X_EN: 1
; COMPUTE_PGM_RSRC2:TGID_Y_EN: 0
; COMPUTE_PGM_RSRC2:TGID_Z_EN: 0
; COMPUTE_PGM_RSRC2:TIDIG_COMP_CNT: 0
	.text
	.protected	_Z19kernel_createIndex4PKcPKiPKlPtS5_PlPii ; -- Begin function _Z19kernel_createIndex4PKcPKiPKlPtS5_PlPii
	.globl	_Z19kernel_createIndex4PKcPKiPKlPtS5_PlPii
	.p2align	8
	.type	_Z19kernel_createIndex4PKcPKiPKlPtS5_PlPii,@function
_Z19kernel_createIndex4PKcPKiPKlPtS5_PlPii: ; @_Z19kernel_createIndex4PKcPKiPKlPtS5_PlPii
; %bb.0:
	s_clause 0x1
	s_load_dword s0, s[4:5], 0x4c
	s_load_dword s1, s[4:5], 0x38
	s_waitcnt lgkmcnt(0)
	s_and_b32 s0, s0, 0xffff
	v_mad_u64_u32 v[4:5], null, s6, s0, v[0:1]
	s_mov_b32 s0, exec_lo
	v_cmpx_gt_i32_e64 s1, v4
	s_cbranch_execz .LBB2_20
; %bb.1:
	s_load_dwordx8 s[8:15], s[4:5], 0x0
	v_ashrrev_i32_e32 v5, 31, v4
	v_mov_b32_e32 v7, 0
	v_mov_b32_e32 v3, 0
	v_mov_b32_e32 v8, 0
	v_mov_b32_e32 v2, 0
	v_lshlrev_b64 v[0:1], 2, v[4:5]
	v_lshlrev_b64 v[5:6], 3, v[4:5]
	s_mov_b32 s0, exec_lo
	s_waitcnt lgkmcnt(0)
	v_add_co_u32 v0, vcc_lo, s10, v0
	v_add_co_ci_u32_e64 v1, null, s11, v1, vcc_lo
	global_load_dword v10, v[0:1], off
	v_mov_b32_e32 v1, 0
	v_mov_b32_e32 v0, 0
	s_waitcnt vmcnt(0)
	v_cmpx_lt_i32_e32 0, v10
	s_cbranch_execz .LBB2_19
; %bb.2:
	v_add_co_u32 v0, vcc_lo, s12, v5
	v_add_co_ci_u32_e64 v1, null, s13, v6, vcc_lo
	v_mov_b32_e32 v18, 4
	v_mov_b32_e32 v14, 0
	;; [unrolled: 1-line block ×3, first 2 shown]
	global_load_dword v8, v[0:1], off
	v_mov_b32_e32 v2, 0
	v_mov_b32_e32 v1, 0
	;; [unrolled: 1-line block ×5, first 2 shown]
	s_mov_b32 s1, 0
	s_waitcnt vmcnt(0)
	v_ashrrev_i32_e32 v9, 31, v8
	v_add_nc_u32_e32 v15, v10, v8
	v_add_co_u32 v10, vcc_lo, s8, v8
	v_lshlrev_b64 v[12:13], 1, v[8:9]
	v_add_co_ci_u32_e64 v11, null, s9, v9, vcc_lo
	v_mov_b32_e32 v9, 4
	v_add_co_u32 v12, vcc_lo, s14, v12
	v_add_co_ci_u32_e64 v13, null, s15, v13, vcc_lo
	s_branch .LBB2_5
.LBB2_3:                                ;   in Loop: Header=BB2_5 Depth=1
	s_or_b32 exec_lo, exec_lo, s3
.LBB2_4:                                ;   in Loop: Header=BB2_5 Depth=1
	s_or_b32 exec_lo, exec_lo, s2
	v_bfe_i32 v20, v16, 0, 8
	v_bfe_i32 v21, v9, 0, 8
	v_lshlrev_b16 v19, 6, v18
	v_lshlrev_b16 v22, 4, v16
	v_bfe_i32 v18, v18, 0, 8
	v_max_i16 v20, v20, 3
	v_max_i16 v21, v21, 3
	v_and_b32_e32 v19, 0xc0, v19
	v_and_b32_e32 v22, 48, v22
	v_lshlrev_b16 v23, 2, v9
	v_max_i16 v18, v18, 3
	v_bfe_i32 v24, v17, 0, 8
	v_add_nc_u16 v20, v20, v21
	v_or_b32_e32 v19, v19, v22
	v_and_b32_e32 v21, 12, v23
	v_and_b32_e32 v18, 0xffff, v18
	v_max_i16 v23, v24, 3
	v_and_b32_e32 v20, 0xffff, v20
	v_and_b32_e32 v22, 3, v17
	v_or_b32_e32 v19, v19, v21
	v_add_nc_u32_e32 v8, 1, v8
	v_add3_u32 v18, v18, v20, -12
	v_sub_nc_u32_sdwa v20, v14, v23 dst_sel:DWORD dst_unused:UNUSED_PAD src0_sel:DWORD src1_sel:WORD_0
	v_or_b32_e32 v19, v19, v22
	v_cmp_eq_u32_e32 vcc_lo, v18, v20
	v_cndmask_b32_e32 v18, -1, v19, vcc_lo
	v_add_co_ci_u32_e64 v7, null, 0, v7, vcc_lo
	v_add_co_u32 v10, vcc_lo, v10, 1
	global_store_short v[12:13], v18, off
	v_add_co_ci_u32_e64 v11, null, 0, v11, vcc_lo
	v_add_co_u32 v12, vcc_lo, v12, 2
	v_add_co_ci_u32_e64 v13, null, 0, v13, vcc_lo
	v_cmp_ge_i32_e32 vcc_lo, v8, v15
	v_mov_b32_e32 v18, v16
	v_mov_b32_e32 v16, v9
	;; [unrolled: 1-line block ×3, first 2 shown]
	s_or_b32 s1, vcc_lo, s1
	s_andn2_b32 exec_lo, exec_lo, s1
	s_cbranch_execz .LBB2_18
.LBB2_5:                                ; =>This Inner Loop Header: Depth=1
	global_load_ubyte v17, v[10:11], off
	s_mov_b32 s2, exec_lo
	s_waitcnt vmcnt(0)
	v_cmpx_lt_i16_e32 1, v17
	s_xor_b32 s2, exec_lo, s2
	s_cbranch_execz .LBB2_13
; %bb.6:                                ;   in Loop: Header=BB2_5 Depth=1
	s_mov_b32 s3, exec_lo
	v_cmpx_lt_i16_e32 2, v17
	s_xor_b32 s3, exec_lo, s3
	s_cbranch_execz .LBB2_10
; %bb.7:                                ;   in Loop: Header=BB2_5 Depth=1
	s_mov_b32 s6, exec_lo
	v_cmpx_eq_u16_e32 3, v17
; %bb.8:                                ;   in Loop: Header=BB2_5 Depth=1
	v_add_nc_u32_e32 v3, 1, v3
; %bb.9:                                ;   in Loop: Header=BB2_5 Depth=1
	s_or_b32 exec_lo, exec_lo, s6
.LBB2_10:                               ;   in Loop: Header=BB2_5 Depth=1
	s_andn2_saveexec_b32 s3, s3
; %bb.11:                               ;   in Loop: Header=BB2_5 Depth=1
	v_add_nc_u32_e32 v2, 1, v2
; %bb.12:                               ;   in Loop: Header=BB2_5 Depth=1
	s_or_b32 exec_lo, exec_lo, s3
.LBB2_13:                               ;   in Loop: Header=BB2_5 Depth=1
	s_andn2_saveexec_b32 s2, s2
	s_cbranch_execz .LBB2_4
; %bb.14:                               ;   in Loop: Header=BB2_5 Depth=1
	s_mov_b32 s3, exec_lo
	v_cmpx_lt_i16_e32 0, v17
	s_xor_b32 s3, exec_lo, s3
; %bb.15:                               ;   in Loop: Header=BB2_5 Depth=1
	v_add_nc_u32_e32 v1, 1, v1
; %bb.16:                               ;   in Loop: Header=BB2_5 Depth=1
	s_andn2_saveexec_b32 s3, s3
	s_cbranch_execz .LBB2_3
; %bb.17:                               ;   in Loop: Header=BB2_5 Depth=1
	v_add_nc_u32_e32 v0, 1, v0
	s_branch .LBB2_3
.LBB2_18:
	s_or_b32 exec_lo, exec_lo, s1
	v_mov_b32_e32 v8, 0
.LBB2_19:
	s_or_b32 exec_lo, exec_lo, s0
	s_load_dwordx4 s[0:3], s[4:5], 0x28
	v_lshlrev_b32_e32 v9, 2, v4
	v_ashrrev_i32_e32 v10, 31, v9
	v_lshlrev_b64 v[9:10], 2, v[9:10]
	s_waitcnt lgkmcnt(0)
	v_add_co_u32 v4, vcc_lo, s0, v5
	v_add_co_ci_u32_e64 v5, null, s1, v6, vcc_lo
	v_add_co_u32 v9, vcc_lo, s2, v9
	v_add_co_ci_u32_e64 v10, null, s3, v10, vcc_lo
	global_store_dwordx2 v[4:5], v[7:8], off
	global_store_dwordx4 v[9:10], v[0:3], off
.LBB2_20:
	s_endpgm
	.section	.rodata,"a",@progbits
	.p2align	6, 0x0
	.amdhsa_kernel _Z19kernel_createIndex4PKcPKiPKlPtS5_PlPii
		.amdhsa_group_segment_fixed_size 0
		.amdhsa_private_segment_fixed_size 0
		.amdhsa_kernarg_size 320
		.amdhsa_user_sgpr_count 6
		.amdhsa_user_sgpr_private_segment_buffer 1
		.amdhsa_user_sgpr_dispatch_ptr 0
		.amdhsa_user_sgpr_queue_ptr 0
		.amdhsa_user_sgpr_kernarg_segment_ptr 1
		.amdhsa_user_sgpr_dispatch_id 0
		.amdhsa_user_sgpr_flat_scratch_init 0
		.amdhsa_user_sgpr_private_segment_size 0
		.amdhsa_wavefront_size32 1
		.amdhsa_uses_dynamic_stack 0
		.amdhsa_system_sgpr_private_segment_wavefront_offset 0
		.amdhsa_system_sgpr_workgroup_id_x 1
		.amdhsa_system_sgpr_workgroup_id_y 0
		.amdhsa_system_sgpr_workgroup_id_z 0
		.amdhsa_system_sgpr_workgroup_info 0
		.amdhsa_system_vgpr_workitem_id 0
		.amdhsa_next_free_vgpr 25
		.amdhsa_next_free_sgpr 16
		.amdhsa_reserve_vcc 1
		.amdhsa_reserve_flat_scratch 0
		.amdhsa_float_round_mode_32 0
		.amdhsa_float_round_mode_16_64 0
		.amdhsa_float_denorm_mode_32 3
		.amdhsa_float_denorm_mode_16_64 3
		.amdhsa_dx10_clamp 1
		.amdhsa_ieee_mode 1
		.amdhsa_fp16_overflow 0
		.amdhsa_workgroup_processor_mode 1
		.amdhsa_memory_ordered 1
		.amdhsa_forward_progress 1
		.amdhsa_shared_vgpr_count 0
		.amdhsa_exception_fp_ieee_invalid_op 0
		.amdhsa_exception_fp_denorm_src 0
		.amdhsa_exception_fp_ieee_div_zero 0
		.amdhsa_exception_fp_ieee_overflow 0
		.amdhsa_exception_fp_ieee_underflow 0
		.amdhsa_exception_fp_ieee_inexact 0
		.amdhsa_exception_int_div_zero 0
	.end_amdhsa_kernel
	.text
.Lfunc_end2:
	.size	_Z19kernel_createIndex4PKcPKiPKlPtS5_PlPii, .Lfunc_end2-_Z19kernel_createIndex4PKcPKiPKlPtS5_PlPii
                                        ; -- End function
	.set _Z19kernel_createIndex4PKcPKiPKlPtS5_PlPii.num_vgpr, 25
	.set _Z19kernel_createIndex4PKcPKiPKlPtS5_PlPii.num_agpr, 0
	.set _Z19kernel_createIndex4PKcPKiPKlPtS5_PlPii.numbered_sgpr, 16
	.set _Z19kernel_createIndex4PKcPKiPKlPtS5_PlPii.num_named_barrier, 0
	.set _Z19kernel_createIndex4PKcPKiPKlPtS5_PlPii.private_seg_size, 0
	.set _Z19kernel_createIndex4PKcPKiPKlPtS5_PlPii.uses_vcc, 1
	.set _Z19kernel_createIndex4PKcPKiPKlPtS5_PlPii.uses_flat_scratch, 0
	.set _Z19kernel_createIndex4PKcPKiPKlPtS5_PlPii.has_dyn_sized_stack, 0
	.set _Z19kernel_createIndex4PKcPKiPKlPtS5_PlPii.has_recursion, 0
	.set _Z19kernel_createIndex4PKcPKiPKlPtS5_PlPii.has_indirect_call, 0
	.section	.AMDGPU.csdata,"",@progbits
; Kernel info:
; codeLenInByte = 732
; TotalNumSgprs: 18
; NumVgprs: 25
; ScratchSize: 0
; MemoryBound: 0
; FloatMode: 240
; IeeeMode: 1
; LDSByteSize: 0 bytes/workgroup (compile time only)
; SGPRBlocks: 0
; VGPRBlocks: 3
; NumSGPRsForWavesPerEU: 18
; NumVGPRsForWavesPerEU: 25
; Occupancy: 16
; WaveLimiterHint : 0
; COMPUTE_PGM_RSRC2:SCRATCH_EN: 0
; COMPUTE_PGM_RSRC2:USER_SGPR: 6
; COMPUTE_PGM_RSRC2:TRAP_HANDLER: 0
; COMPUTE_PGM_RSRC2:TGID_X_EN: 1
; COMPUTE_PGM_RSRC2:TGID_Y_EN: 0
; COMPUTE_PGM_RSRC2:TGID_Z_EN: 0
; COMPUTE_PGM_RSRC2:TIDIG_COMP_CNT: 0
	.text
	.protected	_Z19kernel_createIndex5PKcPKiPKlPtS5_PlPii ; -- Begin function _Z19kernel_createIndex5PKcPKiPKlPtS5_PlPii
	.globl	_Z19kernel_createIndex5PKcPKiPKlPtS5_PlPii
	.p2align	8
	.type	_Z19kernel_createIndex5PKcPKiPKlPtS5_PlPii,@function
_Z19kernel_createIndex5PKcPKiPKlPtS5_PlPii: ; @_Z19kernel_createIndex5PKcPKiPKlPtS5_PlPii
; %bb.0:
	s_clause 0x1
	s_load_dword s0, s[4:5], 0x4c
	s_load_dword s1, s[4:5], 0x38
	s_waitcnt lgkmcnt(0)
	s_and_b32 s0, s0, 0xffff
	v_mad_u64_u32 v[4:5], null, s6, s0, v[0:1]
	s_mov_b32 s0, exec_lo
	v_cmpx_gt_i32_e64 s1, v4
	s_cbranch_execz .LBB3_20
; %bb.1:
	s_load_dwordx8 s[8:15], s[4:5], 0x0
	v_ashrrev_i32_e32 v5, 31, v4
	v_mov_b32_e32 v7, 0
	v_mov_b32_e32 v3, 0
	;; [unrolled: 1-line block ×4, first 2 shown]
	v_lshlrev_b64 v[0:1], 2, v[4:5]
	v_lshlrev_b64 v[5:6], 3, v[4:5]
	s_mov_b32 s1, exec_lo
	s_waitcnt lgkmcnt(0)
	v_add_co_u32 v0, vcc_lo, s10, v0
	v_add_co_ci_u32_e64 v1, null, s11, v1, vcc_lo
	global_load_dword v10, v[0:1], off
	v_mov_b32_e32 v1, 0
	v_mov_b32_e32 v0, 0
	s_waitcnt vmcnt(0)
	v_cmpx_lt_i32_e32 0, v10
	s_cbranch_execz .LBB3_19
; %bb.2:
	v_add_co_u32 v0, vcc_lo, s12, v5
	v_add_co_ci_u32_e64 v1, null, s13, v6, vcc_lo
	v_mov_b32_e32 v20, 4
	v_mov_b32_e32 v14, 0
	;; [unrolled: 1-line block ×3, first 2 shown]
	global_load_dword v8, v[0:1], off
	v_mov_b32_e32 v2, 0
	v_mov_b32_e32 v1, 0
	;; [unrolled: 1-line block ×8, first 2 shown]
	s_mov_b32 s2, 0
	s_waitcnt vmcnt(0)
	v_ashrrev_i32_e32 v9, 31, v8
	v_add_nc_u32_e32 v16, v10, v8
	v_add_co_u32 v10, vcc_lo, s8, v8
	v_lshlrev_b64 v[12:13], 1, v[8:9]
	v_add_co_ci_u32_e64 v11, null, s9, v9, vcc_lo
	v_mov_b32_e32 v9, 4
	v_add_co_u32 v12, vcc_lo, s14, v12
	v_add_co_ci_u32_e64 v13, null, s15, v13, vcc_lo
	s_branch .LBB3_5
.LBB3_3:                                ;   in Loop: Header=BB3_5 Depth=1
	s_or_b32 exec_lo, exec_lo, s3
.LBB3_4:                                ;   in Loop: Header=BB3_5 Depth=1
	s_or_b32 exec_lo, exec_lo, s0
	v_lshlrev_b16 v22, 8, v18
	v_perm_b32 v20, v20, v17, 0xc0c0004
	v_lshlrev_b16 v25, 8, v19
	v_bfe_i32 v23, v21, 0, 8
	v_bfe_i32 v26, v9, 0, 8
	v_or_b32_sdwa v22, v19, v22 dst_sel:DWORD dst_unused:UNUSED_PAD src0_sel:BYTE_0 src1_sel:DWORD
	v_lshlrev_b16 v19, 6, v19
	v_lshlrev_b16 v27, 2, v21
	;; [unrolled: 1-line block ×3, first 2 shown]
	v_max_i16 v23, v23, 3
	v_lshlrev_b32_e32 v24, 16, v22
	v_bfe_i32 v22, v22, 0, 8
	v_and_b32_e32 v19, 0xc0, v19
	v_and_b32_e32 v27, 12, v27
	v_max_i16 v26, v26, 3
	v_or_b32_e32 v20, v20, v24
	v_lshrrev_b32_e32 v24, 24, v24
	v_max_i16 v22, v22, 3
	v_and_b32_e32 v28, 3, v9
	v_add_nc_u32_e32 v8, 1, v8
	v_lshrrev_b32_e32 v20, 8, v20
	v_lshlrev_b16 v30, 4, v24
	v_bfe_i32 v24, v24, 0, 8
	v_add_co_u32 v10, vcc_lo, v10, 1
	v_lshlrev_b16 v29, 8, v20
	v_bfe_i32 v20, v20, 0, 8
	v_max_i16 v24, v24, 3
	v_and_b32_e32 v30, 48, v30
	v_add_co_ci_u32_e64 v11, null, 0, v11, vcc_lo
	v_and_b32_e32 v29, 0x300, v29
	v_max_i16 v20, v20, 3
	v_add_nc_u16 v22, v22, v24
	v_cmp_ge_i32_e32 vcc_lo, v8, v16
	v_or_b32_e32 v19, v29, v19
	v_add_nc_u32_sdwa v20, v20, v22 dst_sel:DWORD dst_unused:UNUSED_PAD src0_sel:WORD_0 src1_sel:WORD_0
	v_lshrrev_b32_sdwa v22, v15, v25 dst_sel:BYTE_1 dst_unused:UNUSED_PAD src0_sel:DWORD src1_sel:DWORD
	s_or_b32 s2, vcc_lo, s2
	v_or_b32_e32 v24, v19, v30
	v_or_b32_sdwa v19, v18, v21 dst_sel:DWORD dst_unused:UNUSED_PAD src0_sel:BYTE_0 src1_sel:DWORD
	v_and_b32_e32 v18, 0xffff, v23
	v_or_b32_e32 v21, v24, v27
	v_sub_nc_u32_sdwa v24, v14, v26 dst_sel:DWORD dst_unused:UNUSED_PAD src0_sel:DWORD src1_sel:WORD_0
	v_add3_u32 v18, v20, v18, -15
	v_lshlrev_b32_e32 v23, 16, v19
	v_or_b32_sdwa v20, v17, v22 dst_sel:DWORD dst_unused:UNUSED_PAD src0_sel:BYTE_0 src1_sel:DWORD
	v_or_b32_e32 v21, v21, v28
	v_cmp_eq_u32_e64 s0, v18, v24
	v_or_b32_sdwa v25, v22, v23 dst_sel:DWORD dst_unused:UNUSED_PAD src0_sel:WORD_0 src1_sel:DWORD
	v_lshrrev_b32_e32 v18, 24, v23
	v_cndmask_b32_e64 v21, -1, v21, s0
	v_add_co_ci_u32_e64 v7, null, 0, v7, s0
	v_lshrrev_b32_e32 v17, 8, v25
	global_store_short v[12:13], v21, off
	v_add_co_u32 v12, s0, v12, 2
	v_add_co_ci_u32_e64 v13, null, 0, v13, s0
	s_andn2_b32 exec_lo, exec_lo, s2
	s_cbranch_execz .LBB3_18
.LBB3_5:                                ; =>This Inner Loop Header: Depth=1
	v_mov_b32_e32 v21, v9
	global_load_ubyte v9, v[10:11], off
	s_mov_b32 s0, exec_lo
	s_waitcnt vmcnt(0)
	v_cmpx_lt_i16_e32 1, v9
	s_xor_b32 s0, exec_lo, s0
	s_cbranch_execz .LBB3_13
; %bb.6:                                ;   in Loop: Header=BB3_5 Depth=1
	s_mov_b32 s3, exec_lo
	v_cmpx_lt_i16_e32 2, v9
	s_xor_b32 s3, exec_lo, s3
	s_cbranch_execz .LBB3_10
; %bb.7:                                ;   in Loop: Header=BB3_5 Depth=1
	s_mov_b32 s6, exec_lo
	v_cmpx_eq_u16_e32 3, v9
; %bb.8:                                ;   in Loop: Header=BB3_5 Depth=1
	v_add_nc_u32_e32 v3, 1, v3
; %bb.9:                                ;   in Loop: Header=BB3_5 Depth=1
	s_or_b32 exec_lo, exec_lo, s6
.LBB3_10:                               ;   in Loop: Header=BB3_5 Depth=1
	s_andn2_saveexec_b32 s3, s3
; %bb.11:                               ;   in Loop: Header=BB3_5 Depth=1
	v_add_nc_u32_e32 v2, 1, v2
; %bb.12:                               ;   in Loop: Header=BB3_5 Depth=1
	s_or_b32 exec_lo, exec_lo, s3
.LBB3_13:                               ;   in Loop: Header=BB3_5 Depth=1
	s_andn2_saveexec_b32 s0, s0
	s_cbranch_execz .LBB3_4
; %bb.14:                               ;   in Loop: Header=BB3_5 Depth=1
	s_mov_b32 s3, exec_lo
	v_cmpx_lt_i16_e32 0, v9
	s_xor_b32 s3, exec_lo, s3
; %bb.15:                               ;   in Loop: Header=BB3_5 Depth=1
	v_add_nc_u32_e32 v1, 1, v1
; %bb.16:                               ;   in Loop: Header=BB3_5 Depth=1
	s_andn2_saveexec_b32 s3, s3
	s_cbranch_execz .LBB3_3
; %bb.17:                               ;   in Loop: Header=BB3_5 Depth=1
	v_add_nc_u32_e32 v0, 1, v0
	s_branch .LBB3_3
.LBB3_18:
	s_or_b32 exec_lo, exec_lo, s2
	v_mov_b32_e32 v8, 0
.LBB3_19:
	s_or_b32 exec_lo, exec_lo, s1
	s_load_dwordx4 s[0:3], s[4:5], 0x28
	v_lshlrev_b32_e32 v9, 2, v4
	v_ashrrev_i32_e32 v10, 31, v9
	v_lshlrev_b64 v[9:10], 2, v[9:10]
	s_waitcnt lgkmcnt(0)
	v_add_co_u32 v4, vcc_lo, s0, v5
	v_add_co_ci_u32_e64 v5, null, s1, v6, vcc_lo
	v_add_co_u32 v9, vcc_lo, s2, v9
	v_add_co_ci_u32_e64 v10, null, s3, v10, vcc_lo
	global_store_dwordx2 v[4:5], v[7:8], off
	global_store_dwordx4 v[9:10], v[0:3], off
.LBB3_20:
	s_endpgm
	.section	.rodata,"a",@progbits
	.p2align	6, 0x0
	.amdhsa_kernel _Z19kernel_createIndex5PKcPKiPKlPtS5_PlPii
		.amdhsa_group_segment_fixed_size 0
		.amdhsa_private_segment_fixed_size 0
		.amdhsa_kernarg_size 320
		.amdhsa_user_sgpr_count 6
		.amdhsa_user_sgpr_private_segment_buffer 1
		.amdhsa_user_sgpr_dispatch_ptr 0
		.amdhsa_user_sgpr_queue_ptr 0
		.amdhsa_user_sgpr_kernarg_segment_ptr 1
		.amdhsa_user_sgpr_dispatch_id 0
		.amdhsa_user_sgpr_flat_scratch_init 0
		.amdhsa_user_sgpr_private_segment_size 0
		.amdhsa_wavefront_size32 1
		.amdhsa_uses_dynamic_stack 0
		.amdhsa_system_sgpr_private_segment_wavefront_offset 0
		.amdhsa_system_sgpr_workgroup_id_x 1
		.amdhsa_system_sgpr_workgroup_id_y 0
		.amdhsa_system_sgpr_workgroup_id_z 0
		.amdhsa_system_sgpr_workgroup_info 0
		.amdhsa_system_vgpr_workitem_id 0
		.amdhsa_next_free_vgpr 31
		.amdhsa_next_free_sgpr 16
		.amdhsa_reserve_vcc 1
		.amdhsa_reserve_flat_scratch 0
		.amdhsa_float_round_mode_32 0
		.amdhsa_float_round_mode_16_64 0
		.amdhsa_float_denorm_mode_32 3
		.amdhsa_float_denorm_mode_16_64 3
		.amdhsa_dx10_clamp 1
		.amdhsa_ieee_mode 1
		.amdhsa_fp16_overflow 0
		.amdhsa_workgroup_processor_mode 1
		.amdhsa_memory_ordered 1
		.amdhsa_forward_progress 1
		.amdhsa_shared_vgpr_count 0
		.amdhsa_exception_fp_ieee_invalid_op 0
		.amdhsa_exception_fp_denorm_src 0
		.amdhsa_exception_fp_ieee_div_zero 0
		.amdhsa_exception_fp_ieee_overflow 0
		.amdhsa_exception_fp_ieee_underflow 0
		.amdhsa_exception_fp_ieee_inexact 0
		.amdhsa_exception_int_div_zero 0
	.end_amdhsa_kernel
	.text
.Lfunc_end3:
	.size	_Z19kernel_createIndex5PKcPKiPKlPtS5_PlPii, .Lfunc_end3-_Z19kernel_createIndex5PKcPKiPKlPtS5_PlPii
                                        ; -- End function
	.set _Z19kernel_createIndex5PKcPKiPKlPtS5_PlPii.num_vgpr, 31
	.set _Z19kernel_createIndex5PKcPKiPKlPtS5_PlPii.num_agpr, 0
	.set _Z19kernel_createIndex5PKcPKiPKlPtS5_PlPii.numbered_sgpr, 16
	.set _Z19kernel_createIndex5PKcPKiPKlPtS5_PlPii.num_named_barrier, 0
	.set _Z19kernel_createIndex5PKcPKiPKlPtS5_PlPii.private_seg_size, 0
	.set _Z19kernel_createIndex5PKcPKiPKlPtS5_PlPii.uses_vcc, 1
	.set _Z19kernel_createIndex5PKcPKiPKlPtS5_PlPii.uses_flat_scratch, 0
	.set _Z19kernel_createIndex5PKcPKiPKlPtS5_PlPii.has_dyn_sized_stack, 0
	.set _Z19kernel_createIndex5PKcPKiPKlPtS5_PlPii.has_recursion, 0
	.set _Z19kernel_createIndex5PKcPKiPKlPtS5_PlPii.has_indirect_call, 0
	.section	.AMDGPU.csdata,"",@progbits
; Kernel info:
; codeLenInByte = 884
; TotalNumSgprs: 18
; NumVgprs: 31
; ScratchSize: 0
; MemoryBound: 0
; FloatMode: 240
; IeeeMode: 1
; LDSByteSize: 0 bytes/workgroup (compile time only)
; SGPRBlocks: 0
; VGPRBlocks: 3
; NumSGPRsForWavesPerEU: 18
; NumVGPRsForWavesPerEU: 31
; Occupancy: 16
; WaveLimiterHint : 0
; COMPUTE_PGM_RSRC2:SCRATCH_EN: 0
; COMPUTE_PGM_RSRC2:USER_SGPR: 6
; COMPUTE_PGM_RSRC2:TRAP_HANDLER: 0
; COMPUTE_PGM_RSRC2:TGID_X_EN: 1
; COMPUTE_PGM_RSRC2:TGID_Y_EN: 0
; COMPUTE_PGM_RSRC2:TGID_Z_EN: 0
; COMPUTE_PGM_RSRC2:TIDIG_COMP_CNT: 0
	.text
	.protected	_Z19kernel_createIndex6PKcPKiPKlPtS5_PlPii ; -- Begin function _Z19kernel_createIndex6PKcPKiPKlPtS5_PlPii
	.globl	_Z19kernel_createIndex6PKcPKiPKlPtS5_PlPii
	.p2align	8
	.type	_Z19kernel_createIndex6PKcPKiPKlPtS5_PlPii,@function
_Z19kernel_createIndex6PKcPKiPKlPtS5_PlPii: ; @_Z19kernel_createIndex6PKcPKiPKlPtS5_PlPii
; %bb.0:
	s_clause 0x1
	s_load_dword s0, s[4:5], 0x4c
	s_load_dword s1, s[4:5], 0x38
	s_waitcnt lgkmcnt(0)
	s_and_b32 s0, s0, 0xffff
	v_mad_u64_u32 v[4:5], null, s6, s0, v[0:1]
	s_mov_b32 s0, exec_lo
	v_cmpx_gt_i32_e64 s1, v4
	s_cbranch_execz .LBB4_20
; %bb.1:
	s_load_dwordx8 s[8:15], s[4:5], 0x0
	v_ashrrev_i32_e32 v5, 31, v4
	v_mov_b32_e32 v7, 0
	v_mov_b32_e32 v3, 0
	;; [unrolled: 1-line block ×4, first 2 shown]
	v_lshlrev_b64 v[0:1], 2, v[4:5]
	v_lshlrev_b64 v[5:6], 3, v[4:5]
	s_mov_b32 s1, exec_lo
	s_waitcnt lgkmcnt(0)
	v_add_co_u32 v0, vcc_lo, s10, v0
	v_add_co_ci_u32_e64 v1, null, s11, v1, vcc_lo
	global_load_dword v10, v[0:1], off
	v_mov_b32_e32 v1, 0
	v_mov_b32_e32 v0, 0
	s_waitcnt vmcnt(0)
	v_cmpx_lt_i32_e32 0, v10
	s_cbranch_execz .LBB4_19
; %bb.2:
	v_add_co_u32 v0, vcc_lo, s12, v5
	v_add_co_ci_u32_e64 v1, null, s13, v6, vcc_lo
	v_mov_b32_e32 v19, 4
	v_mov_b32_e32 v14, 0
	;; [unrolled: 1-line block ×3, first 2 shown]
	global_load_dword v8, v[0:1], off
	v_mov_b32_e32 v2, 0
	v_mov_b32_e32 v1, 0
	;; [unrolled: 1-line block ×10, first 2 shown]
	s_mov_b32 s2, 0
	s_waitcnt vmcnt(0)
	v_ashrrev_i32_e32 v9, 31, v8
	v_add_nc_u32_e32 v16, v10, v8
	v_add_co_u32 v10, vcc_lo, s8, v8
	v_lshlrev_b64 v[12:13], 1, v[8:9]
	v_add_co_ci_u32_e64 v11, null, s9, v9, vcc_lo
	v_add_co_u32 v12, vcc_lo, s14, v12
	v_add_co_ci_u32_e64 v13, null, s15, v13, vcc_lo
	s_branch .LBB4_5
.LBB4_3:                                ;   in Loop: Header=BB4_5 Depth=1
	s_or_b32 exec_lo, exec_lo, s3
.LBB4_4:                                ;   in Loop: Header=BB4_5 Depth=1
	s_or_b32 exec_lo, exec_lo, s0
	v_lshlrev_b16 v23, 8, v21
	v_perm_b32 v19, v19, v20, 0xc0c0004
	v_perm_b32 v20, v20, v18, 0xc0c0004
	v_bfe_i32 v24, v22, 0, 8
	v_bfe_i32 v26, v9, 0, 8
	v_or_b32_sdwa v23, v18, v23 dst_sel:DWORD dst_unused:UNUSED_PAD src0_sel:BYTE_0 src1_sel:DWORD
	v_lshlrev_b16 v18, 8, v18
	v_perm_b32 v21, v21, v22, 0xc0c0004
	v_perm_b32 v22, v9, v22, 0x5040100
	v_max_i16 v24, v24, 3
	v_lshlrev_b32_e32 v25, 16, v23
	v_and_b32_e32 v18, 0x300, v18
	v_bfe_i32 v23, v23, 0, 8
	v_pk_lshlrev_b16 v22, 0x20004, v22
	v_max_i16 v26, v26, 3
	v_or_b32_e32 v19, v19, v25
	v_lshrrev_b32_e32 v25, 24, v25
	v_max_i16 v23, v23, 3
	v_bfe_i32 v27, v17, 0, 8
	v_and_b32_e32 v22, 0xc0030, v22
	v_lshrrev_b32_e32 v19, 8, v19
	v_lshlrev_b16 v30, 6, v25
	v_bfe_i32 v25, v25, 0, 8
	v_add_nc_u16 v24, v24, v26
	v_max_i16 v26, v27, 3
	v_lshlrev_b16 v29, 10, v19
	v_and_b32_e32 v30, 0xc0, v30
	v_bfe_i32 v19, v19, 0, 8
	v_max_i16 v25, v25, 3
	v_and_b32_e32 v28, 3, v17
	v_and_b32_e32 v29, 0xc00, v29
	v_add_nc_u32_e32 v8, 1, v8
	v_max_i16 v19, v19, 3
	v_add_nc_u16 v23, v23, v25
	v_add_co_u32 v10, vcc_lo, v10, 1
	v_or_b32_e32 v18, v29, v18
	v_lshrrev_b32_sdwa v29, v15, v21 dst_sel:BYTE_1 dst_unused:UNUSED_PAD src0_sel:DWORD src1_sel:DWORD
	v_add_nc_u32_sdwa v19, v19, v23 dst_sel:DWORD dst_unused:UNUSED_PAD src0_sel:WORD_0 src1_sel:WORD_0
	v_lshrrev_b32_sdwa v23, v15, v20 dst_sel:BYTE_1 dst_unused:UNUSED_PAD src0_sel:DWORD src1_sel:DWORD
	v_add_co_ci_u32_e64 v11, null, 0, v11, vcc_lo
	v_or_b32_e32 v18, v18, v30
	v_cmp_ge_i32_e32 vcc_lo, v8, v16
	v_or_b32_e32 v25, v18, v22
	v_or_b32_sdwa v18, v21, v29 dst_sel:DWORD dst_unused:UNUSED_PAD src0_sel:BYTE_0 src1_sel:DWORD
	v_and_b32_e32 v21, 0xffff, v24
	s_or_b32 s2, vcc_lo, s2
	v_or_b32_sdwa v22, v25, v22 dst_sel:DWORD dst_unused:UNUSED_PAD src0_sel:DWORD src1_sel:WORD_1
	v_sub_nc_u32_sdwa v25, v14, v26 dst_sel:DWORD dst_unused:UNUSED_PAD src0_sel:DWORD src1_sel:WORD_0
	v_add3_u32 v21, v19, v21, 0xffffffee
	v_lshlrev_b32_e32 v24, 16, v18
	v_or_b32_sdwa v19, v20, v23 dst_sel:DWORD dst_unused:UNUSED_PAD src0_sel:BYTE_0 src1_sel:DWORD
	v_or_b32_e32 v22, v22, v28
	v_cmp_eq_u32_e64 s0, v21, v25
	v_or_b32_sdwa v26, v23, v24 dst_sel:DWORD dst_unused:UNUSED_PAD src0_sel:WORD_0 src1_sel:DWORD
	v_lshrrev_b32_e32 v21, 24, v24
	v_cndmask_b32_e64 v22, -1, v22, s0
	v_add_co_ci_u32_e64 v7, null, 0, v7, s0
	v_lshrrev_b32_e32 v20, 8, v26
	global_store_short v[12:13], v22, off
	v_add_co_u32 v12, s0, v12, 2
	v_add_co_ci_u32_e64 v13, null, 0, v13, s0
	v_mov_b32_e32 v22, v9
	s_andn2_b32 exec_lo, exec_lo, s2
	s_cbranch_execz .LBB4_18
.LBB4_5:                                ; =>This Inner Loop Header: Depth=1
	v_mov_b32_e32 v9, v17
	global_load_ubyte v17, v[10:11], off
	s_mov_b32 s0, exec_lo
	s_waitcnt vmcnt(0)
	v_cmpx_lt_i16_e32 1, v17
	s_xor_b32 s0, exec_lo, s0
	s_cbranch_execz .LBB4_13
; %bb.6:                                ;   in Loop: Header=BB4_5 Depth=1
	s_mov_b32 s3, exec_lo
	v_cmpx_lt_i16_e32 2, v17
	s_xor_b32 s3, exec_lo, s3
	s_cbranch_execz .LBB4_10
; %bb.7:                                ;   in Loop: Header=BB4_5 Depth=1
	s_mov_b32 s6, exec_lo
	v_cmpx_eq_u16_e32 3, v17
; %bb.8:                                ;   in Loop: Header=BB4_5 Depth=1
	v_add_nc_u32_e32 v3, 1, v3
; %bb.9:                                ;   in Loop: Header=BB4_5 Depth=1
	s_or_b32 exec_lo, exec_lo, s6
.LBB4_10:                               ;   in Loop: Header=BB4_5 Depth=1
	s_andn2_saveexec_b32 s3, s3
; %bb.11:                               ;   in Loop: Header=BB4_5 Depth=1
	v_add_nc_u32_e32 v2, 1, v2
; %bb.12:                               ;   in Loop: Header=BB4_5 Depth=1
	s_or_b32 exec_lo, exec_lo, s3
.LBB4_13:                               ;   in Loop: Header=BB4_5 Depth=1
	s_andn2_saveexec_b32 s0, s0
	s_cbranch_execz .LBB4_4
; %bb.14:                               ;   in Loop: Header=BB4_5 Depth=1
	s_mov_b32 s3, exec_lo
	v_cmpx_lt_i16_e32 0, v17
	s_xor_b32 s3, exec_lo, s3
; %bb.15:                               ;   in Loop: Header=BB4_5 Depth=1
	v_add_nc_u32_e32 v1, 1, v1
; %bb.16:                               ;   in Loop: Header=BB4_5 Depth=1
	s_andn2_saveexec_b32 s3, s3
	s_cbranch_execz .LBB4_3
; %bb.17:                               ;   in Loop: Header=BB4_5 Depth=1
	v_add_nc_u32_e32 v0, 1, v0
	s_branch .LBB4_3
.LBB4_18:
	s_or_b32 exec_lo, exec_lo, s2
	v_mov_b32_e32 v8, 0
.LBB4_19:
	s_or_b32 exec_lo, exec_lo, s1
	s_load_dwordx4 s[0:3], s[4:5], 0x28
	v_lshlrev_b32_e32 v9, 2, v4
	v_ashrrev_i32_e32 v10, 31, v9
	v_lshlrev_b64 v[9:10], 2, v[9:10]
	s_waitcnt lgkmcnt(0)
	v_add_co_u32 v4, vcc_lo, s0, v5
	v_add_co_ci_u32_e64 v5, null, s1, v6, vcc_lo
	v_add_co_u32 v9, vcc_lo, s2, v9
	v_add_co_ci_u32_e64 v10, null, s3, v10, vcc_lo
	global_store_dwordx2 v[4:5], v[7:8], off
	global_store_dwordx4 v[9:10], v[0:3], off
.LBB4_20:
	s_endpgm
	.section	.rodata,"a",@progbits
	.p2align	6, 0x0
	.amdhsa_kernel _Z19kernel_createIndex6PKcPKiPKlPtS5_PlPii
		.amdhsa_group_segment_fixed_size 0
		.amdhsa_private_segment_fixed_size 0
		.amdhsa_kernarg_size 320
		.amdhsa_user_sgpr_count 6
		.amdhsa_user_sgpr_private_segment_buffer 1
		.amdhsa_user_sgpr_dispatch_ptr 0
		.amdhsa_user_sgpr_queue_ptr 0
		.amdhsa_user_sgpr_kernarg_segment_ptr 1
		.amdhsa_user_sgpr_dispatch_id 0
		.amdhsa_user_sgpr_flat_scratch_init 0
		.amdhsa_user_sgpr_private_segment_size 0
		.amdhsa_wavefront_size32 1
		.amdhsa_uses_dynamic_stack 0
		.amdhsa_system_sgpr_private_segment_wavefront_offset 0
		.amdhsa_system_sgpr_workgroup_id_x 1
		.amdhsa_system_sgpr_workgroup_id_y 0
		.amdhsa_system_sgpr_workgroup_id_z 0
		.amdhsa_system_sgpr_workgroup_info 0
		.amdhsa_system_vgpr_workitem_id 0
		.amdhsa_next_free_vgpr 31
		.amdhsa_next_free_sgpr 16
		.amdhsa_reserve_vcc 1
		.amdhsa_reserve_flat_scratch 0
		.amdhsa_float_round_mode_32 0
		.amdhsa_float_round_mode_16_64 0
		.amdhsa_float_denorm_mode_32 3
		.amdhsa_float_denorm_mode_16_64 3
		.amdhsa_dx10_clamp 1
		.amdhsa_ieee_mode 1
		.amdhsa_fp16_overflow 0
		.amdhsa_workgroup_processor_mode 1
		.amdhsa_memory_ordered 1
		.amdhsa_forward_progress 1
		.amdhsa_shared_vgpr_count 0
		.amdhsa_exception_fp_ieee_invalid_op 0
		.amdhsa_exception_fp_denorm_src 0
		.amdhsa_exception_fp_ieee_div_zero 0
		.amdhsa_exception_fp_ieee_overflow 0
		.amdhsa_exception_fp_ieee_underflow 0
		.amdhsa_exception_fp_ieee_inexact 0
		.amdhsa_exception_int_div_zero 0
	.end_amdhsa_kernel
	.text
.Lfunc_end4:
	.size	_Z19kernel_createIndex6PKcPKiPKlPtS5_PlPii, .Lfunc_end4-_Z19kernel_createIndex6PKcPKiPKlPtS5_PlPii
                                        ; -- End function
	.set _Z19kernel_createIndex6PKcPKiPKlPtS5_PlPii.num_vgpr, 31
	.set _Z19kernel_createIndex6PKcPKiPKlPtS5_PlPii.num_agpr, 0
	.set _Z19kernel_createIndex6PKcPKiPKlPtS5_PlPii.numbered_sgpr, 16
	.set _Z19kernel_createIndex6PKcPKiPKlPtS5_PlPii.num_named_barrier, 0
	.set _Z19kernel_createIndex6PKcPKiPKlPtS5_PlPii.private_seg_size, 0
	.set _Z19kernel_createIndex6PKcPKiPKlPtS5_PlPii.uses_vcc, 1
	.set _Z19kernel_createIndex6PKcPKiPKlPtS5_PlPii.uses_flat_scratch, 0
	.set _Z19kernel_createIndex6PKcPKiPKlPtS5_PlPii.has_dyn_sized_stack, 0
	.set _Z19kernel_createIndex6PKcPKiPKlPtS5_PlPii.has_recursion, 0
	.set _Z19kernel_createIndex6PKcPKiPKlPtS5_PlPii.has_indirect_call, 0
	.section	.AMDGPU.csdata,"",@progbits
; Kernel info:
; codeLenInByte = 968
; TotalNumSgprs: 18
; NumVgprs: 31
; ScratchSize: 0
; MemoryBound: 0
; FloatMode: 240
; IeeeMode: 1
; LDSByteSize: 0 bytes/workgroup (compile time only)
; SGPRBlocks: 0
; VGPRBlocks: 3
; NumSGPRsForWavesPerEU: 18
; NumVGPRsForWavesPerEU: 31
; Occupancy: 16
; WaveLimiterHint : 0
; COMPUTE_PGM_RSRC2:SCRATCH_EN: 0
; COMPUTE_PGM_RSRC2:USER_SGPR: 6
; COMPUTE_PGM_RSRC2:TRAP_HANDLER: 0
; COMPUTE_PGM_RSRC2:TGID_X_EN: 1
; COMPUTE_PGM_RSRC2:TGID_Y_EN: 0
; COMPUTE_PGM_RSRC2:TGID_Z_EN: 0
; COMPUTE_PGM_RSRC2:TIDIG_COMP_CNT: 0
	.text
	.protected	_Z19kernel_createIndex7PKcPKiPKlPtS5_PlPii ; -- Begin function _Z19kernel_createIndex7PKcPKiPKlPtS5_PlPii
	.globl	_Z19kernel_createIndex7PKcPKiPKlPtS5_PlPii
	.p2align	8
	.type	_Z19kernel_createIndex7PKcPKiPKlPtS5_PlPii,@function
_Z19kernel_createIndex7PKcPKiPKlPtS5_PlPii: ; @_Z19kernel_createIndex7PKcPKiPKlPtS5_PlPii
; %bb.0:
	s_clause 0x1
	s_load_dword s0, s[4:5], 0x4c
	s_load_dword s1, s[4:5], 0x38
	s_waitcnt lgkmcnt(0)
	s_and_b32 s0, s0, 0xffff
	v_mad_u64_u32 v[4:5], null, s6, s0, v[0:1]
	s_mov_b32 s0, exec_lo
	v_cmpx_gt_i32_e64 s1, v4
	s_cbranch_execz .LBB5_20
; %bb.1:
	s_load_dwordx8 s[8:15], s[4:5], 0x0
	v_ashrrev_i32_e32 v5, 31, v4
	v_mov_b32_e32 v7, 0
	v_mov_b32_e32 v3, 0
	;; [unrolled: 1-line block ×4, first 2 shown]
	v_lshlrev_b64 v[0:1], 2, v[4:5]
	v_lshlrev_b64 v[5:6], 3, v[4:5]
	s_mov_b32 s1, exec_lo
	s_waitcnt lgkmcnt(0)
	v_add_co_u32 v0, vcc_lo, s10, v0
	v_add_co_ci_u32_e64 v1, null, s11, v1, vcc_lo
	global_load_dword v10, v[0:1], off
	v_mov_b32_e32 v1, 0
	v_mov_b32_e32 v0, 0
	s_waitcnt vmcnt(0)
	v_cmpx_lt_i32_e32 0, v10
	s_cbranch_execz .LBB5_19
; %bb.2:
	v_add_co_u32 v0, vcc_lo, s12, v5
	v_add_co_ci_u32_e64 v1, null, s13, v6, vcc_lo
	v_mov_b32_e32 v21, 4
	v_mov_b32_e32 v14, 0
	v_mov_b32_e32 v3, 0
	global_load_dword v8, v[0:1], off
	v_mov_b32_e32 v2, 0
	v_mov_b32_e32 v1, 0
	;; [unrolled: 1-line block ×11, first 2 shown]
	s_mov_b32 s2, 0
	s_waitcnt vmcnt(0)
	v_ashrrev_i32_e32 v9, 31, v8
	v_add_nc_u32_e32 v16, v10, v8
	v_add_co_u32 v10, vcc_lo, s8, v8
	v_lshlrev_b64 v[12:13], 1, v[8:9]
	v_add_co_ci_u32_e64 v11, null, s9, v9, vcc_lo
	v_add_co_u32 v12, vcc_lo, s14, v12
	v_add_co_ci_u32_e64 v13, null, s15, v13, vcc_lo
	s_branch .LBB5_5
.LBB5_3:                                ;   in Loop: Header=BB5_5 Depth=1
	s_or_b32 exec_lo, exec_lo, s3
.LBB5_4:                                ;   in Loop: Header=BB5_5 Depth=1
	s_or_b32 exec_lo, exec_lo, s0
	v_lshlrev_b16 v24, 8, v23
	v_perm_b32 v21, v21, v22, 0xc0c0004
	v_perm_b32 v22, v22, v20, 0xc0c0004
	v_bfe_i32 v26, v19, 0, 8
	v_bfe_i32 v27, v18, 0, 8
	v_or_b32_sdwa v24, v20, v24 dst_sel:DWORD dst_unused:UNUSED_PAD src0_sel:BYTE_0 src1_sel:DWORD
	v_lshlrev_b16 v20, 10, v20
	v_perm_b32 v23, v23, v19, 0xc0c0004
	v_perm_b32 v30, v18, v19, 0x5040100
	v_mov_b32_e32 v19, v18
	v_lshlrev_b32_e32 v25, 16, v24
	v_and_b32_e32 v18, 0xc00, v20
	v_bfe_i32 v24, v24, 0, 8
	v_pk_lshlrev_b16 v30, 0x40006, v30
	v_bfe_i32 v28, v9, 0, 8
	v_or_b32_e32 v21, v21, v25
	v_lshrrev_b32_e32 v25, 24, v25
	v_max_i16 v26, v26, 3
	v_max_i16 v27, v27, 3
	v_and_b32_e32 v30, 0x3000c0, v30
	v_lshrrev_b32_e32 v21, 8, v21
	v_lshlrev_b16 v20, 8, v25
	v_bfe_i32 v25, v25, 0, 8
	v_bfe_i32 v29, v17, 0, 8
	v_lshlrev_b16 v31, 2, v9
	v_lshlrev_b16 v33, 12, v21
	v_and_b32_e32 v20, 0x300, v20
	v_bfe_i32 v21, v21, 0, 8
	v_max_i16 v28, v28, 3
	v_add_nc_u16 v26, v26, v27
	v_and_b32_e32 v33, 0x3000, v33
	v_and_b32_e32 v31, 12, v31
	v_max_i16 v21, v21, 3
	v_max_i16 v27, v29, 3
	v_and_b32_e32 v32, 3, v17
	v_or_b32_e32 v18, v33, v18
	v_add_nc_u32_e32 v8, 1, v8
	v_add_co_u32 v10, vcc_lo, v10, 1
	v_add_co_ci_u32_e64 v11, null, 0, v11, vcc_lo
	v_or_b32_e32 v18, v18, v20
	v_max_i16 v20, v24, 3
	v_max_i16 v24, v25, 3
	v_lshrrev_b32_sdwa v25, v15, v23 dst_sel:BYTE_1 dst_unused:UNUSED_PAD src0_sel:DWORD src1_sel:DWORD
	v_cmp_ge_i32_e32 vcc_lo, v8, v16
	v_or_b32_e32 v18, v18, v30
	v_add_nc_u16 v24, v20, v24
	v_or_b32_sdwa v20, v23, v25 dst_sel:DWORD dst_unused:UNUSED_PAD src0_sel:BYTE_0 src1_sel:DWORD
	v_add_nc_u32_sdwa v23, v26, v28 dst_sel:DWORD dst_unused:UNUSED_PAD src0_sel:WORD_0 src1_sel:WORD_0
	v_or_b32_sdwa v18, v18, v30 dst_sel:DWORD dst_unused:UNUSED_PAD src0_sel:DWORD src1_sel:WORD_1
	v_sub_nc_u32_sdwa v26, v14, v27 dst_sel:DWORD dst_unused:UNUSED_PAD src0_sel:DWORD src1_sel:WORD_0
	v_add_nc_u32_sdwa v21, v21, v24 dst_sel:DWORD dst_unused:UNUSED_PAD src0_sel:WORD_0 src1_sel:WORD_0
	v_lshrrev_b32_sdwa v24, v15, v22 dst_sel:BYTE_1 dst_unused:UNUSED_PAD src0_sel:DWORD src1_sel:DWORD
	v_lshlrev_b32_e32 v25, 16, v20
	v_or_b32_e32 v18, v18, v31
	s_or_b32 s2, vcc_lo, s2
	v_add3_u32 v23, v21, v23, 0xffffffeb
	v_or_b32_sdwa v21, v22, v24 dst_sel:DWORD dst_unused:UNUSED_PAD src0_sel:BYTE_0 src1_sel:DWORD
	v_or_b32_sdwa v27, v24, v25 dst_sel:DWORD dst_unused:UNUSED_PAD src0_sel:WORD_0 src1_sel:DWORD
	v_or_b32_e32 v18, v18, v32
	v_cmp_eq_u32_e64 s0, v23, v26
	v_lshrrev_b32_e32 v23, 24, v25
	v_lshrrev_b32_e32 v22, 8, v27
	v_cndmask_b32_e64 v18, -1, v18, s0
	v_add_co_ci_u32_e64 v7, null, 0, v7, s0
	global_store_short v[12:13], v18, off
	v_add_co_u32 v12, s0, v12, 2
	v_add_co_ci_u32_e64 v13, null, 0, v13, s0
	v_mov_b32_e32 v18, v9
	s_andn2_b32 exec_lo, exec_lo, s2
	s_cbranch_execz .LBB5_18
.LBB5_5:                                ; =>This Inner Loop Header: Depth=1
	v_mov_b32_e32 v9, v17
	global_load_ubyte v17, v[10:11], off
	s_mov_b32 s0, exec_lo
	s_waitcnt vmcnt(0)
	v_cmpx_lt_i16_e32 1, v17
	s_xor_b32 s0, exec_lo, s0
	s_cbranch_execz .LBB5_13
; %bb.6:                                ;   in Loop: Header=BB5_5 Depth=1
	s_mov_b32 s3, exec_lo
	v_cmpx_lt_i16_e32 2, v17
	s_xor_b32 s3, exec_lo, s3
	s_cbranch_execz .LBB5_10
; %bb.7:                                ;   in Loop: Header=BB5_5 Depth=1
	s_mov_b32 s6, exec_lo
	v_cmpx_eq_u16_e32 3, v17
; %bb.8:                                ;   in Loop: Header=BB5_5 Depth=1
	v_add_nc_u32_e32 v3, 1, v3
; %bb.9:                                ;   in Loop: Header=BB5_5 Depth=1
	s_or_b32 exec_lo, exec_lo, s6
.LBB5_10:                               ;   in Loop: Header=BB5_5 Depth=1
	s_andn2_saveexec_b32 s3, s3
; %bb.11:                               ;   in Loop: Header=BB5_5 Depth=1
	v_add_nc_u32_e32 v2, 1, v2
; %bb.12:                               ;   in Loop: Header=BB5_5 Depth=1
	s_or_b32 exec_lo, exec_lo, s3
.LBB5_13:                               ;   in Loop: Header=BB5_5 Depth=1
	s_andn2_saveexec_b32 s0, s0
	s_cbranch_execz .LBB5_4
; %bb.14:                               ;   in Loop: Header=BB5_5 Depth=1
	s_mov_b32 s3, exec_lo
	v_cmpx_lt_i16_e32 0, v17
	s_xor_b32 s3, exec_lo, s3
; %bb.15:                               ;   in Loop: Header=BB5_5 Depth=1
	v_add_nc_u32_e32 v1, 1, v1
; %bb.16:                               ;   in Loop: Header=BB5_5 Depth=1
	s_andn2_saveexec_b32 s3, s3
	s_cbranch_execz .LBB5_3
; %bb.17:                               ;   in Loop: Header=BB5_5 Depth=1
	v_add_nc_u32_e32 v0, 1, v0
	s_branch .LBB5_3
.LBB5_18:
	s_or_b32 exec_lo, exec_lo, s2
	v_mov_b32_e32 v8, 0
.LBB5_19:
	s_or_b32 exec_lo, exec_lo, s1
	s_load_dwordx4 s[0:3], s[4:5], 0x28
	v_lshlrev_b32_e32 v9, 2, v4
	v_ashrrev_i32_e32 v10, 31, v9
	v_lshlrev_b64 v[9:10], 2, v[9:10]
	s_waitcnt lgkmcnt(0)
	v_add_co_u32 v4, vcc_lo, s0, v5
	v_add_co_ci_u32_e64 v5, null, s1, v6, vcc_lo
	v_add_co_u32 v9, vcc_lo, s2, v9
	v_add_co_ci_u32_e64 v10, null, s3, v10, vcc_lo
	global_store_dwordx2 v[4:5], v[7:8], off
	global_store_dwordx4 v[9:10], v[0:3], off
.LBB5_20:
	s_endpgm
	.section	.rodata,"a",@progbits
	.p2align	6, 0x0
	.amdhsa_kernel _Z19kernel_createIndex7PKcPKiPKlPtS5_PlPii
		.amdhsa_group_segment_fixed_size 0
		.amdhsa_private_segment_fixed_size 0
		.amdhsa_kernarg_size 320
		.amdhsa_user_sgpr_count 6
		.amdhsa_user_sgpr_private_segment_buffer 1
		.amdhsa_user_sgpr_dispatch_ptr 0
		.amdhsa_user_sgpr_queue_ptr 0
		.amdhsa_user_sgpr_kernarg_segment_ptr 1
		.amdhsa_user_sgpr_dispatch_id 0
		.amdhsa_user_sgpr_flat_scratch_init 0
		.amdhsa_user_sgpr_private_segment_size 0
		.amdhsa_wavefront_size32 1
		.amdhsa_uses_dynamic_stack 0
		.amdhsa_system_sgpr_private_segment_wavefront_offset 0
		.amdhsa_system_sgpr_workgroup_id_x 1
		.amdhsa_system_sgpr_workgroup_id_y 0
		.amdhsa_system_sgpr_workgroup_id_z 0
		.amdhsa_system_sgpr_workgroup_info 0
		.amdhsa_system_vgpr_workitem_id 0
		.amdhsa_next_free_vgpr 34
		.amdhsa_next_free_sgpr 16
		.amdhsa_reserve_vcc 1
		.amdhsa_reserve_flat_scratch 0
		.amdhsa_float_round_mode_32 0
		.amdhsa_float_round_mode_16_64 0
		.amdhsa_float_denorm_mode_32 3
		.amdhsa_float_denorm_mode_16_64 3
		.amdhsa_dx10_clamp 1
		.amdhsa_ieee_mode 1
		.amdhsa_fp16_overflow 0
		.amdhsa_workgroup_processor_mode 1
		.amdhsa_memory_ordered 1
		.amdhsa_forward_progress 1
		.amdhsa_shared_vgpr_count 0
		.amdhsa_exception_fp_ieee_invalid_op 0
		.amdhsa_exception_fp_denorm_src 0
		.amdhsa_exception_fp_ieee_div_zero 0
		.amdhsa_exception_fp_ieee_overflow 0
		.amdhsa_exception_fp_ieee_underflow 0
		.amdhsa_exception_fp_ieee_inexact 0
		.amdhsa_exception_int_div_zero 0
	.end_amdhsa_kernel
	.text
.Lfunc_end5:
	.size	_Z19kernel_createIndex7PKcPKiPKlPtS5_PlPii, .Lfunc_end5-_Z19kernel_createIndex7PKcPKiPKlPtS5_PlPii
                                        ; -- End function
	.set _Z19kernel_createIndex7PKcPKiPKlPtS5_PlPii.num_vgpr, 34
	.set _Z19kernel_createIndex7PKcPKiPKlPtS5_PlPii.num_agpr, 0
	.set _Z19kernel_createIndex7PKcPKiPKlPtS5_PlPii.numbered_sgpr, 16
	.set _Z19kernel_createIndex7PKcPKiPKlPtS5_PlPii.num_named_barrier, 0
	.set _Z19kernel_createIndex7PKcPKiPKlPtS5_PlPii.private_seg_size, 0
	.set _Z19kernel_createIndex7PKcPKiPKlPtS5_PlPii.uses_vcc, 1
	.set _Z19kernel_createIndex7PKcPKiPKlPtS5_PlPii.uses_flat_scratch, 0
	.set _Z19kernel_createIndex7PKcPKiPKlPtS5_PlPii.has_dyn_sized_stack, 0
	.set _Z19kernel_createIndex7PKcPKiPKlPtS5_PlPii.has_recursion, 0
	.set _Z19kernel_createIndex7PKcPKiPKlPtS5_PlPii.has_indirect_call, 0
	.section	.AMDGPU.csdata,"",@progbits
; Kernel info:
; codeLenInByte = 1008
; TotalNumSgprs: 18
; NumVgprs: 34
; ScratchSize: 0
; MemoryBound: 0
; FloatMode: 240
; IeeeMode: 1
; LDSByteSize: 0 bytes/workgroup (compile time only)
; SGPRBlocks: 0
; VGPRBlocks: 4
; NumSGPRsForWavesPerEU: 18
; NumVGPRsForWavesPerEU: 34
; Occupancy: 16
; WaveLimiterHint : 0
; COMPUTE_PGM_RSRC2:SCRATCH_EN: 0
; COMPUTE_PGM_RSRC2:USER_SGPR: 6
; COMPUTE_PGM_RSRC2:TRAP_HANDLER: 0
; COMPUTE_PGM_RSRC2:TGID_X_EN: 1
; COMPUTE_PGM_RSRC2:TGID_Y_EN: 0
; COMPUTE_PGM_RSRC2:TGID_Z_EN: 0
; COMPUTE_PGM_RSRC2:TIDIG_COMP_CNT: 0
	.text
	.protected	_Z19kernel_createCutofffiPKiPlPii ; -- Begin function _Z19kernel_createCutofffiPKiPlPii
	.globl	_Z19kernel_createCutofffiPKiPlPii
	.p2align	8
	.type	_Z19kernel_createCutofffiPKiPlPii,@function
_Z19kernel_createCutofffiPKiPlPii:      ; @_Z19kernel_createCutofffiPKiPlPii
; %bb.0:
	s_clause 0x1
	s_load_dword s0, s[4:5], 0x34
	s_load_dword s1, s[4:5], 0x20
	s_waitcnt lgkmcnt(0)
	s_and_b32 s0, s0, 0xffff
	v_mad_u64_u32 v[0:1], null, s6, s0, v[0:1]
	s_mov_b32 s0, exec_lo
	v_cmpx_gt_i32_e64 s1, v0
	s_cbranch_execz .LBB6_2
; %bb.1:
	s_load_dwordx4 s[0:3], s[4:5], 0x0
	v_ashrrev_i32_e32 v1, 31, v0
	s_load_dwordx2 s[4:5], s[4:5], 0x18
	v_lshlrev_b64 v[0:1], 2, v[0:1]
	s_waitcnt lgkmcnt(0)
	v_add_co_u32 v2, vcc_lo, s2, v0
	v_add_co_ci_u32_e64 v3, null, s3, v1, vcc_lo
	v_cvt_f32_i32_e32 v5, s1
	v_add_co_u32 v0, vcc_lo, s4, v0
	global_load_dword v2, v[2:3], off
	v_sub_f32_e64 v3, 1.0, s0
	v_add_co_ci_u32_e64 v1, null, s5, v1, vcc_lo
	s_waitcnt vmcnt(0)
	v_cvt_f32_i32_e32 v4, v2
	v_mul_f32_e32 v3, v3, v4
	v_mul_f32_e32 v3, v3, v5
	v_ceil_f32_e32 v3, v3
	v_cvt_i32_f32_e32 v3, v3
	v_add_nc_u32_e32 v3, s1, v3
	v_sub_nc_u32_e32 v2, v2, v3
	v_add_nc_u32_e32 v2, 1, v2
	global_store_dword v[0:1], v2, off
.LBB6_2:
	s_endpgm
	.section	.rodata,"a",@progbits
	.p2align	6, 0x0
	.amdhsa_kernel _Z19kernel_createCutofffiPKiPlPii
		.amdhsa_group_segment_fixed_size 0
		.amdhsa_private_segment_fixed_size 0
		.amdhsa_kernarg_size 296
		.amdhsa_user_sgpr_count 6
		.amdhsa_user_sgpr_private_segment_buffer 1
		.amdhsa_user_sgpr_dispatch_ptr 0
		.amdhsa_user_sgpr_queue_ptr 0
		.amdhsa_user_sgpr_kernarg_segment_ptr 1
		.amdhsa_user_sgpr_dispatch_id 0
		.amdhsa_user_sgpr_flat_scratch_init 0
		.amdhsa_user_sgpr_private_segment_size 0
		.amdhsa_wavefront_size32 1
		.amdhsa_uses_dynamic_stack 0
		.amdhsa_system_sgpr_private_segment_wavefront_offset 0
		.amdhsa_system_sgpr_workgroup_id_x 1
		.amdhsa_system_sgpr_workgroup_id_y 0
		.amdhsa_system_sgpr_workgroup_id_z 0
		.amdhsa_system_sgpr_workgroup_info 0
		.amdhsa_system_vgpr_workitem_id 0
		.amdhsa_next_free_vgpr 6
		.amdhsa_next_free_sgpr 7
		.amdhsa_reserve_vcc 1
		.amdhsa_reserve_flat_scratch 0
		.amdhsa_float_round_mode_32 0
		.amdhsa_float_round_mode_16_64 0
		.amdhsa_float_denorm_mode_32 3
		.amdhsa_float_denorm_mode_16_64 3
		.amdhsa_dx10_clamp 1
		.amdhsa_ieee_mode 1
		.amdhsa_fp16_overflow 0
		.amdhsa_workgroup_processor_mode 1
		.amdhsa_memory_ordered 1
		.amdhsa_forward_progress 1
		.amdhsa_shared_vgpr_count 0
		.amdhsa_exception_fp_ieee_invalid_op 0
		.amdhsa_exception_fp_denorm_src 0
		.amdhsa_exception_fp_ieee_div_zero 0
		.amdhsa_exception_fp_ieee_overflow 0
		.amdhsa_exception_fp_ieee_underflow 0
		.amdhsa_exception_fp_ieee_inexact 0
		.amdhsa_exception_int_div_zero 0
	.end_amdhsa_kernel
	.text
.Lfunc_end6:
	.size	_Z19kernel_createCutofffiPKiPlPii, .Lfunc_end6-_Z19kernel_createCutofffiPKiPlPii
                                        ; -- End function
	.set _Z19kernel_createCutofffiPKiPlPii.num_vgpr, 6
	.set _Z19kernel_createCutofffiPKiPlPii.num_agpr, 0
	.set _Z19kernel_createCutofffiPKiPlPii.numbered_sgpr, 7
	.set _Z19kernel_createCutofffiPKiPlPii.num_named_barrier, 0
	.set _Z19kernel_createCutofffiPKiPlPii.private_seg_size, 0
	.set _Z19kernel_createCutofffiPKiPlPii.uses_vcc, 1
	.set _Z19kernel_createCutofffiPKiPlPii.uses_flat_scratch, 0
	.set _Z19kernel_createCutofffiPKiPlPii.has_dyn_sized_stack, 0
	.set _Z19kernel_createCutofffiPKiPlPii.has_recursion, 0
	.set _Z19kernel_createCutofffiPKiPlPii.has_indirect_call, 0
	.section	.AMDGPU.csdata,"",@progbits
; Kernel info:
; codeLenInByte = 188
; TotalNumSgprs: 9
; NumVgprs: 6
; ScratchSize: 0
; MemoryBound: 0
; FloatMode: 240
; IeeeMode: 1
; LDSByteSize: 0 bytes/workgroup (compile time only)
; SGPRBlocks: 0
; VGPRBlocks: 0
; NumSGPRsForWavesPerEU: 9
; NumVGPRsForWavesPerEU: 6
; Occupancy: 16
; WaveLimiterHint : 0
; COMPUTE_PGM_RSRC2:SCRATCH_EN: 0
; COMPUTE_PGM_RSRC2:USER_SGPR: 6
; COMPUTE_PGM_RSRC2:TRAP_HANDLER: 0
; COMPUTE_PGM_RSRC2:TGID_X_EN: 1
; COMPUTE_PGM_RSRC2:TGID_Y_EN: 0
; COMPUTE_PGM_RSRC2:TGID_Z_EN: 0
; COMPUTE_PGM_RSRC2:TIDIG_COMP_CNT: 0
	.text
	.protected	_Z17kernel_mergeIndexPKlPKtPtS0_i ; -- Begin function _Z17kernel_mergeIndexPKlPKtPtS0_i
	.globl	_Z17kernel_mergeIndexPKlPKtPtS0_i
	.p2align	8
	.type	_Z17kernel_mergeIndexPKlPKtPtS0_i,@function
_Z17kernel_mergeIndexPKlPKtPtS0_i:      ; @_Z17kernel_mergeIndexPKlPKtPtS0_i
; %bb.0:
	s_clause 0x1
	s_load_dword s0, s[4:5], 0x34
	s_load_dword s1, s[4:5], 0x20
	s_waitcnt lgkmcnt(0)
	s_and_b32 s0, s0, 0xffff
	v_mad_u64_u32 v[0:1], null, s6, s0, v[0:1]
	s_mov_b32 s0, exec_lo
	v_cmpx_gt_i32_e64 s1, v0
	s_cbranch_execz .LBB7_6
; %bb.1:
	s_load_dwordx8 s[0:7], s[4:5], 0x0
	v_ashrrev_i32_e32 v1, 31, v0
	v_mov_b32_e32 v6, 1
	v_lshlrev_b64 v[0:1], 3, v[0:1]
	s_waitcnt lgkmcnt(0)
	v_add_co_u32 v2, vcc_lo, s0, v0
	v_add_co_ci_u32_e64 v3, null, s1, v1, vcc_lo
	v_add_co_u32 v4, vcc_lo, s6, v0
	v_add_co_ci_u32_e64 v5, null, s7, v1, vcc_lo
	global_load_dwordx2 v[0:1], v[2:3], off
	s_mov_b32 s1, exec_lo
	global_load_dwordx2 v[1:2], v[4:5], off
	s_waitcnt vmcnt(1)
	v_add_nc_u32_e32 v5, 1, v0
	s_waitcnt vmcnt(0)
	v_add_co_u32 v4, null, v1, v0
	v_cmpx_lt_i32_e64 v5, v4
	s_cbranch_execz .LBB7_5
; %bb.2:
	v_mov_b32_e32 v1, 0
	v_mov_b32_e32 v2, v0
	;; [unrolled: 1-line block ×3, first 2 shown]
	v_ashrrev_i64 v[1:2], 31, v[1:2]
	v_add_co_u32 v1, vcc_lo, s2, v1
	v_add_co_ci_u32_e64 v2, null, s3, v2, vcc_lo
	global_load_ushort v7, v[1:2], off
	v_ashrrev_i32_e32 v1, 31, v0
	v_lshlrev_b64 v[0:1], 1, v[0:1]
	v_add_co_u32 v2, vcc_lo, s2, v0
	v_add_co_ci_u32_e64 v3, null, s3, v1, vcc_lo
	v_add_co_u32 v0, vcc_lo, s4, v0
	v_add_co_ci_u32_e64 v1, null, s5, v1, vcc_lo
	;; [unrolled: 2-line block ×3, first 2 shown]
	s_mov_b32 s2, 0
	.p2align	6
.LBB7_3:                                ; =>This Inner Loop Header: Depth=1
	global_load_ushort v8, v[2:3], off
	v_add_nc_u32_e32 v9, 1, v6
	v_add_nc_u32_e32 v5, 1, v5
	v_add_co_u32 v2, vcc_lo, v2, 2
	v_add_co_ci_u32_e64 v3, null, 0, v3, vcc_lo
	v_cmp_ge_i32_e32 vcc_lo, v5, v4
	s_or_b32 s2, vcc_lo, s2
	s_waitcnt vmcnt(0)
	v_cmp_eq_u16_e64 s0, v8, v7
	v_mov_b32_e32 v7, v8
	v_cndmask_b32_e64 v10, v6, 0, s0
	v_cndmask_b32_e64 v6, 1, v9, s0
	global_store_short v[0:1], v10, off
	v_add_co_u32 v0, s0, v0, 2
	v_add_co_ci_u32_e64 v1, null, 0, v1, s0
	s_andn2_b32 exec_lo, exec_lo, s2
	s_cbranch_execnz .LBB7_3
; %bb.4:
	s_or_b32 exec_lo, exec_lo, s2
.LBB7_5:
	s_or_b32 exec_lo, exec_lo, s1
	v_add_nc_u32_e32 v1, -1, v4
	v_mov_b32_e32 v0, 0
	v_ashrrev_i64 v[0:1], 31, v[0:1]
	v_add_co_u32 v0, vcc_lo, s4, v0
	v_add_co_ci_u32_e64 v1, null, s5, v1, vcc_lo
	global_store_short v[0:1], v6, off
.LBB7_6:
	s_endpgm
	.section	.rodata,"a",@progbits
	.p2align	6, 0x0
	.amdhsa_kernel _Z17kernel_mergeIndexPKlPKtPtS0_i
		.amdhsa_group_segment_fixed_size 0
		.amdhsa_private_segment_fixed_size 0
		.amdhsa_kernarg_size 296
		.amdhsa_user_sgpr_count 6
		.amdhsa_user_sgpr_private_segment_buffer 1
		.amdhsa_user_sgpr_dispatch_ptr 0
		.amdhsa_user_sgpr_queue_ptr 0
		.amdhsa_user_sgpr_kernarg_segment_ptr 1
		.amdhsa_user_sgpr_dispatch_id 0
		.amdhsa_user_sgpr_flat_scratch_init 0
		.amdhsa_user_sgpr_private_segment_size 0
		.amdhsa_wavefront_size32 1
		.amdhsa_uses_dynamic_stack 0
		.amdhsa_system_sgpr_private_segment_wavefront_offset 0
		.amdhsa_system_sgpr_workgroup_id_x 1
		.amdhsa_system_sgpr_workgroup_id_y 0
		.amdhsa_system_sgpr_workgroup_id_z 0
		.amdhsa_system_sgpr_workgroup_info 0
		.amdhsa_system_vgpr_workitem_id 0
		.amdhsa_next_free_vgpr 11
		.amdhsa_next_free_sgpr 8
		.amdhsa_reserve_vcc 1
		.amdhsa_reserve_flat_scratch 0
		.amdhsa_float_round_mode_32 0
		.amdhsa_float_round_mode_16_64 0
		.amdhsa_float_denorm_mode_32 3
		.amdhsa_float_denorm_mode_16_64 3
		.amdhsa_dx10_clamp 1
		.amdhsa_ieee_mode 1
		.amdhsa_fp16_overflow 0
		.amdhsa_workgroup_processor_mode 1
		.amdhsa_memory_ordered 1
		.amdhsa_forward_progress 1
		.amdhsa_shared_vgpr_count 0
		.amdhsa_exception_fp_ieee_invalid_op 0
		.amdhsa_exception_fp_denorm_src 0
		.amdhsa_exception_fp_ieee_div_zero 0
		.amdhsa_exception_fp_ieee_overflow 0
		.amdhsa_exception_fp_ieee_underflow 0
		.amdhsa_exception_fp_ieee_inexact 0
		.amdhsa_exception_int_div_zero 0
	.end_amdhsa_kernel
	.text
.Lfunc_end7:
	.size	_Z17kernel_mergeIndexPKlPKtPtS0_i, .Lfunc_end7-_Z17kernel_mergeIndexPKlPKtPtS0_i
                                        ; -- End function
	.set _Z17kernel_mergeIndexPKlPKtPtS0_i.num_vgpr, 11
	.set _Z17kernel_mergeIndexPKlPKtPtS0_i.num_agpr, 0
	.set _Z17kernel_mergeIndexPKlPKtPtS0_i.numbered_sgpr, 8
	.set _Z17kernel_mergeIndexPKlPKtPtS0_i.num_named_barrier, 0
	.set _Z17kernel_mergeIndexPKlPKtPtS0_i.private_seg_size, 0
	.set _Z17kernel_mergeIndexPKlPKtPtS0_i.uses_vcc, 1
	.set _Z17kernel_mergeIndexPKlPKtPtS0_i.uses_flat_scratch, 0
	.set _Z17kernel_mergeIndexPKlPKtPtS0_i.has_dyn_sized_stack, 0
	.set _Z17kernel_mergeIndexPKlPKtPtS0_i.has_recursion, 0
	.set _Z17kernel_mergeIndexPKlPKtPtS0_i.has_indirect_call, 0
	.section	.AMDGPU.csdata,"",@progbits
; Kernel info:
; codeLenInByte = 476
; TotalNumSgprs: 10
; NumVgprs: 11
; ScratchSize: 0
; MemoryBound: 0
; FloatMode: 240
; IeeeMode: 1
; LDSByteSize: 0 bytes/workgroup (compile time only)
; SGPRBlocks: 0
; VGPRBlocks: 1
; NumSGPRsForWavesPerEU: 10
; NumVGPRsForWavesPerEU: 11
; Occupancy: 16
; WaveLimiterHint : 1
; COMPUTE_PGM_RSRC2:SCRATCH_EN: 0
; COMPUTE_PGM_RSRC2:USER_SGPR: 6
; COMPUTE_PGM_RSRC2:TRAP_HANDLER: 0
; COMPUTE_PGM_RSRC2:TGID_X_EN: 1
; COMPUTE_PGM_RSRC2:TGID_Y_EN: 0
; COMPUTE_PGM_RSRC2:TGID_Z_EN: 0
; COMPUTE_PGM_RSRC2:TIDIG_COMP_CNT: 0
	.text
	.protected	_Z27kernel_updateRepresentativePiS_i ; -- Begin function _Z27kernel_updateRepresentativePiS_i
	.globl	_Z27kernel_updateRepresentativePiS_i
	.p2align	8
	.type	_Z27kernel_updateRepresentativePiS_i,@function
_Z27kernel_updateRepresentativePiS_i:   ; @_Z27kernel_updateRepresentativePiS_i
; %bb.0:
	s_clause 0x1
	s_load_dwordx4 s[0:3], s[4:5], 0x0
	s_load_dword s6, s[4:5], 0x10
	s_waitcnt lgkmcnt(0)
	s_load_dword s4, s[2:3], 0x0
	s_waitcnt lgkmcnt(0)
	s_ashr_i32 s5, s4, 31
	s_add_i32 s7, s4, 1
	s_lshl_b64 s[8:9], s[4:5], 2
	s_max_i32 s5, s6, s7
	s_add_u32 s0, s0, s8
	s_addc_u32 s1, s1, s9
	s_add_u32 s0, s0, 4
	s_addc_u32 s1, s1, 0
	s_branch .LBB8_2
.LBB8_1:                                ;   in Loop: Header=BB8_2 Depth=1
	s_andn2_b32 vcc_lo, exec_lo, s8
	s_cbranch_vccz .LBB8_4
.LBB8_2:                                ; =>This Inner Loop Header: Depth=1
	s_add_i32 s4, s4, 1
	s_mov_b32 s7, -1
	s_cmp_ge_i32 s4, s6
	s_mov_b32 s8, -1
	s_cbranch_scc1 .LBB8_1
; %bb.3:                                ;   in Loop: Header=BB8_2 Depth=1
	s_load_dword s7, s[0:1], 0x0
	s_waitcnt lgkmcnt(0)
	s_cmp_lt_i32 s7, 0
	s_mov_b32 s7, 0
	s_cselect_b32 s8, -1, 0
	s_add_u32 s0, s0, 4
	s_addc_u32 s1, s1, 0
	s_branch .LBB8_1
.LBB8_4:
	s_andn2_b32 vcc_lo, exec_lo, s7
	s_cbranch_vccz .LBB8_6
; %bb.5:
	v_mov_b32_e32 v0, 0
	v_mov_b32_e32 v1, s4
	s_mov_b32 s5, s4
	global_store_dword v0, v1, s[0:1] offset:-4
.LBB8_6:
	v_mov_b32_e32 v0, 0
	v_mov_b32_e32 v1, s5
	global_store_dword v0, v1, s[2:3]
	s_endpgm
	.section	.rodata,"a",@progbits
	.p2align	6, 0x0
	.amdhsa_kernel _Z27kernel_updateRepresentativePiS_i
		.amdhsa_group_segment_fixed_size 0
		.amdhsa_private_segment_fixed_size 0
		.amdhsa_kernarg_size 20
		.amdhsa_user_sgpr_count 6
		.amdhsa_user_sgpr_private_segment_buffer 1
		.amdhsa_user_sgpr_dispatch_ptr 0
		.amdhsa_user_sgpr_queue_ptr 0
		.amdhsa_user_sgpr_kernarg_segment_ptr 1
		.amdhsa_user_sgpr_dispatch_id 0
		.amdhsa_user_sgpr_flat_scratch_init 0
		.amdhsa_user_sgpr_private_segment_size 0
		.amdhsa_wavefront_size32 1
		.amdhsa_uses_dynamic_stack 0
		.amdhsa_system_sgpr_private_segment_wavefront_offset 0
		.amdhsa_system_sgpr_workgroup_id_x 1
		.amdhsa_system_sgpr_workgroup_id_y 0
		.amdhsa_system_sgpr_workgroup_id_z 0
		.amdhsa_system_sgpr_workgroup_info 0
		.amdhsa_system_vgpr_workitem_id 0
		.amdhsa_next_free_vgpr 2
		.amdhsa_next_free_sgpr 10
		.amdhsa_reserve_vcc 1
		.amdhsa_reserve_flat_scratch 0
		.amdhsa_float_round_mode_32 0
		.amdhsa_float_round_mode_16_64 0
		.amdhsa_float_denorm_mode_32 3
		.amdhsa_float_denorm_mode_16_64 3
		.amdhsa_dx10_clamp 1
		.amdhsa_ieee_mode 1
		.amdhsa_fp16_overflow 0
		.amdhsa_workgroup_processor_mode 1
		.amdhsa_memory_ordered 1
		.amdhsa_forward_progress 1
		.amdhsa_shared_vgpr_count 0
		.amdhsa_exception_fp_ieee_invalid_op 0
		.amdhsa_exception_fp_denorm_src 0
		.amdhsa_exception_fp_ieee_div_zero 0
		.amdhsa_exception_fp_ieee_overflow 0
		.amdhsa_exception_fp_ieee_underflow 0
		.amdhsa_exception_fp_ieee_inexact 0
		.amdhsa_exception_int_div_zero 0
	.end_amdhsa_kernel
	.text
.Lfunc_end8:
	.size	_Z27kernel_updateRepresentativePiS_i, .Lfunc_end8-_Z27kernel_updateRepresentativePiS_i
                                        ; -- End function
	.set _Z27kernel_updateRepresentativePiS_i.num_vgpr, 2
	.set _Z27kernel_updateRepresentativePiS_i.num_agpr, 0
	.set _Z27kernel_updateRepresentativePiS_i.numbered_sgpr, 10
	.set _Z27kernel_updateRepresentativePiS_i.num_named_barrier, 0
	.set _Z27kernel_updateRepresentativePiS_i.private_seg_size, 0
	.set _Z27kernel_updateRepresentativePiS_i.uses_vcc, 1
	.set _Z27kernel_updateRepresentativePiS_i.uses_flat_scratch, 0
	.set _Z27kernel_updateRepresentativePiS_i.has_dyn_sized_stack, 0
	.set _Z27kernel_updateRepresentativePiS_i.has_recursion, 0
	.set _Z27kernel_updateRepresentativePiS_i.has_indirect_call, 0
	.section	.AMDGPU.csdata,"",@progbits
; Kernel info:
; codeLenInByte = 184
; TotalNumSgprs: 12
; NumVgprs: 2
; ScratchSize: 0
; MemoryBound: 0
; FloatMode: 240
; IeeeMode: 1
; LDSByteSize: 0 bytes/workgroup (compile time only)
; SGPRBlocks: 0
; VGPRBlocks: 0
; NumSGPRsForWavesPerEU: 12
; NumVGPRsForWavesPerEU: 2
; Occupancy: 16
; WaveLimiterHint : 0
; COMPUTE_PGM_RSRC2:SCRATCH_EN: 0
; COMPUTE_PGM_RSRC2:USER_SGPR: 6
; COMPUTE_PGM_RSRC2:TRAP_HANDLER: 0
; COMPUTE_PGM_RSRC2:TGID_X_EN: 1
; COMPUTE_PGM_RSRC2:TGID_Y_EN: 0
; COMPUTE_PGM_RSRC2:TGID_Z_EN: 0
; COMPUTE_PGM_RSRC2:TIDIG_COMP_CNT: 0
	.text
	.protected	_Z16kernel_makeTablePKlPKtS2_S0_Pti ; -- Begin function _Z16kernel_makeTablePKlPKtS2_S0_Pti
	.globl	_Z16kernel_makeTablePKlPKtS2_S0_Pti
	.p2align	8
	.type	_Z16kernel_makeTablePKlPKtS2_S0_Pti,@function
_Z16kernel_makeTablePKlPKtS2_S0_Pti:    ; @_Z16kernel_makeTablePKlPKtS2_S0_Pti
; %bb.0:
	s_clause 0x2
	s_load_dword s0, s[4:5], 0x28
	s_load_dword s2, s[4:5], 0x3c
	s_load_dwordx8 s[8:15], s[4:5], 0x0
	s_waitcnt lgkmcnt(0)
	s_ashr_i32 s1, s0, 31
	s_and_b32 s7, s2, 0xffff
	s_lshl_b64 s[0:1], s[0:1], 3
	s_mul_i32 s6, s6, s7
	s_add_u32 s2, s8, s0
	s_addc_u32 s3, s9, s1
	s_add_u32 s0, s14, s0
	s_load_dword s2, s[2:3], 0x0
	s_addc_u32 s1, s15, s1
	s_load_dword s1, s[0:1], 0x0
	s_mov_b32 s0, exec_lo
	s_waitcnt lgkmcnt(0)
	v_add3_u32 v0, s2, s6, v0
	s_add_i32 s1, s1, s2
	v_cmpx_gt_i32_e64 s1, v0
	s_cbranch_execz .LBB9_5
; %bb.1:
	v_ashrrev_i32_e32 v1, 31, v0
	s_load_dwordx2 s[2:3], s[4:5], 0x20
	s_mov_b32 s4, 0
	v_lshlrev_b64 v[3:4], 1, v[0:1]
	v_add_co_u32 v1, vcc_lo, s12, v3
	v_add_co_ci_u32_e64 v2, null, s13, v4, vcc_lo
	v_add_co_u32 v3, vcc_lo, s10, v3
	v_add_co_ci_u32_e64 v4, null, s11, v4, vcc_lo
	s_inst_prefetch 0x1
	s_branch .LBB9_3
	.p2align	6
.LBB9_2:                                ;   in Loop: Header=BB9_3 Depth=1
	s_or_b32 exec_lo, exec_lo, s0
	v_add_nc_u32_e32 v0, 0x4000, v0
	v_add_co_u32 v1, vcc_lo, 0x8000, v1
	v_add_co_ci_u32_e64 v2, null, 0, v2, vcc_lo
	v_cmp_le_i32_e32 vcc_lo, s1, v0
	v_add_co_u32 v3, s0, 0x8000, v3
	v_add_co_ci_u32_e64 v4, null, 0, v4, s0
	s_or_b32 s4, vcc_lo, s4
	s_andn2_b32 exec_lo, exec_lo, s4
	s_cbranch_execz .LBB9_5
.LBB9_3:                                ; =>This Inner Loop Header: Depth=1
	global_load_ushort v5, v[1:2], off
	s_mov_b32 s0, exec_lo
	s_waitcnt vmcnt(0)
	v_cmpx_ne_u16_e32 0, v5
	s_cbranch_execz .LBB9_2
; %bb.4:                                ;   in Loop: Header=BB9_3 Depth=1
	global_load_ushort v6, v[3:4], off
	s_waitcnt vmcnt(0)
	v_lshlrev_b32_e32 v6, 1, v6
	s_waitcnt lgkmcnt(0)
	global_store_short v6, v5, s[2:3]
	s_branch .LBB9_2
.LBB9_5:
	s_inst_prefetch 0x2
	s_endpgm
	.section	.rodata,"a",@progbits
	.p2align	6, 0x0
	.amdhsa_kernel _Z16kernel_makeTablePKlPKtS2_S0_Pti
		.amdhsa_group_segment_fixed_size 0
		.amdhsa_private_segment_fixed_size 0
		.amdhsa_kernarg_size 304
		.amdhsa_user_sgpr_count 6
		.amdhsa_user_sgpr_private_segment_buffer 1
		.amdhsa_user_sgpr_dispatch_ptr 0
		.amdhsa_user_sgpr_queue_ptr 0
		.amdhsa_user_sgpr_kernarg_segment_ptr 1
		.amdhsa_user_sgpr_dispatch_id 0
		.amdhsa_user_sgpr_flat_scratch_init 0
		.amdhsa_user_sgpr_private_segment_size 0
		.amdhsa_wavefront_size32 1
		.amdhsa_uses_dynamic_stack 0
		.amdhsa_system_sgpr_private_segment_wavefront_offset 0
		.amdhsa_system_sgpr_workgroup_id_x 1
		.amdhsa_system_sgpr_workgroup_id_y 0
		.amdhsa_system_sgpr_workgroup_id_z 0
		.amdhsa_system_sgpr_workgroup_info 0
		.amdhsa_system_vgpr_workitem_id 0
		.amdhsa_next_free_vgpr 7
		.amdhsa_next_free_sgpr 16
		.amdhsa_reserve_vcc 1
		.amdhsa_reserve_flat_scratch 0
		.amdhsa_float_round_mode_32 0
		.amdhsa_float_round_mode_16_64 0
		.amdhsa_float_denorm_mode_32 3
		.amdhsa_float_denorm_mode_16_64 3
		.amdhsa_dx10_clamp 1
		.amdhsa_ieee_mode 1
		.amdhsa_fp16_overflow 0
		.amdhsa_workgroup_processor_mode 1
		.amdhsa_memory_ordered 1
		.amdhsa_forward_progress 1
		.amdhsa_shared_vgpr_count 0
		.amdhsa_exception_fp_ieee_invalid_op 0
		.amdhsa_exception_fp_denorm_src 0
		.amdhsa_exception_fp_ieee_div_zero 0
		.amdhsa_exception_fp_ieee_overflow 0
		.amdhsa_exception_fp_ieee_underflow 0
		.amdhsa_exception_fp_ieee_inexact 0
		.amdhsa_exception_int_div_zero 0
	.end_amdhsa_kernel
	.text
.Lfunc_end9:
	.size	_Z16kernel_makeTablePKlPKtS2_S0_Pti, .Lfunc_end9-_Z16kernel_makeTablePKlPKtS2_S0_Pti
                                        ; -- End function
	.set _Z16kernel_makeTablePKlPKtS2_S0_Pti.num_vgpr, 7
	.set _Z16kernel_makeTablePKlPKtS2_S0_Pti.num_agpr, 0
	.set _Z16kernel_makeTablePKlPKtS2_S0_Pti.numbered_sgpr, 16
	.set _Z16kernel_makeTablePKlPKtS2_S0_Pti.num_named_barrier, 0
	.set _Z16kernel_makeTablePKlPKtS2_S0_Pti.private_seg_size, 0
	.set _Z16kernel_makeTablePKlPKtS2_S0_Pti.uses_vcc, 1
	.set _Z16kernel_makeTablePKlPKtS2_S0_Pti.uses_flat_scratch, 0
	.set _Z16kernel_makeTablePKlPKtS2_S0_Pti.has_dyn_sized_stack, 0
	.set _Z16kernel_makeTablePKlPKtS2_S0_Pti.has_recursion, 0
	.set _Z16kernel_makeTablePKlPKtS2_S0_Pti.has_indirect_call, 0
	.section	.AMDGPU.csdata,"",@progbits
; Kernel info:
; codeLenInByte = 324
; TotalNumSgprs: 18
; NumVgprs: 7
; ScratchSize: 0
; MemoryBound: 0
; FloatMode: 240
; IeeeMode: 1
; LDSByteSize: 0 bytes/workgroup (compile time only)
; SGPRBlocks: 0
; VGPRBlocks: 0
; NumSGPRsForWavesPerEU: 18
; NumVGPRsForWavesPerEU: 7
; Occupancy: 16
; WaveLimiterHint : 1
; COMPUTE_PGM_RSRC2:SCRATCH_EN: 0
; COMPUTE_PGM_RSRC2:USER_SGPR: 6
; COMPUTE_PGM_RSRC2:TRAP_HANDLER: 0
; COMPUTE_PGM_RSRC2:TGID_X_EN: 1
; COMPUTE_PGM_RSRC2:TGID_Y_EN: 0
; COMPUTE_PGM_RSRC2:TGID_Z_EN: 0
; COMPUTE_PGM_RSRC2:TIDIG_COMP_CNT: 0
	.text
	.protected	_Z17kernel_cleanTablePKlPKtS2_S0_Pti ; -- Begin function _Z17kernel_cleanTablePKlPKtS2_S0_Pti
	.globl	_Z17kernel_cleanTablePKlPKtS2_S0_Pti
	.p2align	8
	.type	_Z17kernel_cleanTablePKlPKtS2_S0_Pti,@function
_Z17kernel_cleanTablePKlPKtS2_S0_Pti:   ; @_Z17kernel_cleanTablePKlPKtS2_S0_Pti
; %bb.0:
	s_clause 0x2
	s_load_dword s0, s[4:5], 0x28
	s_load_dword s2, s[4:5], 0x3c
	s_load_dwordx8 s[8:15], s[4:5], 0x0
	s_waitcnt lgkmcnt(0)
	s_ashr_i32 s1, s0, 31
	s_and_b32 s7, s2, 0xffff
	s_lshl_b64 s[0:1], s[0:1], 3
	s_mul_i32 s6, s6, s7
	s_add_u32 s2, s8, s0
	s_addc_u32 s3, s9, s1
	s_add_u32 s0, s14, s0
	s_load_dword s2, s[2:3], 0x0
	s_addc_u32 s1, s15, s1
	s_load_dword s1, s[0:1], 0x0
	s_mov_b32 s0, exec_lo
	s_waitcnt lgkmcnt(0)
	v_add3_u32 v0, s2, s6, v0
	s_add_i32 s1, s1, s2
	v_cmpx_gt_i32_e64 s1, v0
	s_cbranch_execz .LBB10_5
; %bb.1:
	v_ashrrev_i32_e32 v1, 31, v0
	s_load_dwordx2 s[2:3], s[4:5], 0x20
	v_mov_b32_e32 v5, 0
	s_mov_b32 s4, 0
	v_lshlrev_b64 v[3:4], 1, v[0:1]
	v_add_co_u32 v1, vcc_lo, s12, v3
	v_add_co_ci_u32_e64 v2, null, s13, v4, vcc_lo
	v_add_co_u32 v3, vcc_lo, s10, v3
	v_add_co_ci_u32_e64 v4, null, s11, v4, vcc_lo
	s_inst_prefetch 0x1
	s_branch .LBB10_3
	.p2align	6
.LBB10_2:                               ;   in Loop: Header=BB10_3 Depth=1
	s_or_b32 exec_lo, exec_lo, s0
	v_add_nc_u32_e32 v0, 0x4000, v0
	v_add_co_u32 v1, vcc_lo, 0x8000, v1
	v_add_co_ci_u32_e64 v2, null, 0, v2, vcc_lo
	v_cmp_le_i32_e32 vcc_lo, s1, v0
	v_add_co_u32 v3, s0, 0x8000, v3
	v_add_co_ci_u32_e64 v4, null, 0, v4, s0
	s_or_b32 s4, vcc_lo, s4
	s_andn2_b32 exec_lo, exec_lo, s4
	s_cbranch_execz .LBB10_5
.LBB10_3:                               ; =>This Inner Loop Header: Depth=1
	global_load_ushort v6, v[1:2], off
	s_mov_b32 s0, exec_lo
	s_waitcnt vmcnt(0)
	v_cmpx_ne_u16_e32 0, v6
	s_cbranch_execz .LBB10_2
; %bb.4:                                ;   in Loop: Header=BB10_3 Depth=1
	global_load_ushort v6, v[3:4], off
	s_waitcnt vmcnt(0)
	v_lshlrev_b32_e32 v6, 1, v6
	s_waitcnt lgkmcnt(0)
	global_store_short v6, v5, s[2:3]
	s_branch .LBB10_2
.LBB10_5:
	s_inst_prefetch 0x2
	s_endpgm
	.section	.rodata,"a",@progbits
	.p2align	6, 0x0
	.amdhsa_kernel _Z17kernel_cleanTablePKlPKtS2_S0_Pti
		.amdhsa_group_segment_fixed_size 0
		.amdhsa_private_segment_fixed_size 0
		.amdhsa_kernarg_size 304
		.amdhsa_user_sgpr_count 6
		.amdhsa_user_sgpr_private_segment_buffer 1
		.amdhsa_user_sgpr_dispatch_ptr 0
		.amdhsa_user_sgpr_queue_ptr 0
		.amdhsa_user_sgpr_kernarg_segment_ptr 1
		.amdhsa_user_sgpr_dispatch_id 0
		.amdhsa_user_sgpr_flat_scratch_init 0
		.amdhsa_user_sgpr_private_segment_size 0
		.amdhsa_wavefront_size32 1
		.amdhsa_uses_dynamic_stack 0
		.amdhsa_system_sgpr_private_segment_wavefront_offset 0
		.amdhsa_system_sgpr_workgroup_id_x 1
		.amdhsa_system_sgpr_workgroup_id_y 0
		.amdhsa_system_sgpr_workgroup_id_z 0
		.amdhsa_system_sgpr_workgroup_info 0
		.amdhsa_system_vgpr_workitem_id 0
		.amdhsa_next_free_vgpr 7
		.amdhsa_next_free_sgpr 16
		.amdhsa_reserve_vcc 1
		.amdhsa_reserve_flat_scratch 0
		.amdhsa_float_round_mode_32 0
		.amdhsa_float_round_mode_16_64 0
		.amdhsa_float_denorm_mode_32 3
		.amdhsa_float_denorm_mode_16_64 3
		.amdhsa_dx10_clamp 1
		.amdhsa_ieee_mode 1
		.amdhsa_fp16_overflow 0
		.amdhsa_workgroup_processor_mode 1
		.amdhsa_memory_ordered 1
		.amdhsa_forward_progress 1
		.amdhsa_shared_vgpr_count 0
		.amdhsa_exception_fp_ieee_invalid_op 0
		.amdhsa_exception_fp_denorm_src 0
		.amdhsa_exception_fp_ieee_div_zero 0
		.amdhsa_exception_fp_ieee_overflow 0
		.amdhsa_exception_fp_ieee_underflow 0
		.amdhsa_exception_fp_ieee_inexact 0
		.amdhsa_exception_int_div_zero 0
	.end_amdhsa_kernel
	.text
.Lfunc_end10:
	.size	_Z17kernel_cleanTablePKlPKtS2_S0_Pti, .Lfunc_end10-_Z17kernel_cleanTablePKlPKtS2_S0_Pti
                                        ; -- End function
	.set _Z17kernel_cleanTablePKlPKtS2_S0_Pti.num_vgpr, 7
	.set _Z17kernel_cleanTablePKlPKtS2_S0_Pti.num_agpr, 0
	.set _Z17kernel_cleanTablePKlPKtS2_S0_Pti.numbered_sgpr, 16
	.set _Z17kernel_cleanTablePKlPKtS2_S0_Pti.num_named_barrier, 0
	.set _Z17kernel_cleanTablePKlPKtS2_S0_Pti.private_seg_size, 0
	.set _Z17kernel_cleanTablePKlPKtS2_S0_Pti.uses_vcc, 1
	.set _Z17kernel_cleanTablePKlPKtS2_S0_Pti.uses_flat_scratch, 0
	.set _Z17kernel_cleanTablePKlPKtS2_S0_Pti.has_dyn_sized_stack, 0
	.set _Z17kernel_cleanTablePKlPKtS2_S0_Pti.has_recursion, 0
	.set _Z17kernel_cleanTablePKlPKtS2_S0_Pti.has_indirect_call, 0
	.section	.AMDGPU.csdata,"",@progbits
; Kernel info:
; codeLenInByte = 324
; TotalNumSgprs: 18
; NumVgprs: 7
; ScratchSize: 0
; MemoryBound: 0
; FloatMode: 240
; IeeeMode: 1
; LDSByteSize: 0 bytes/workgroup (compile time only)
; SGPRBlocks: 0
; VGPRBlocks: 0
; NumSGPRsForWavesPerEU: 18
; NumVGPRsForWavesPerEU: 7
; Occupancy: 16
; WaveLimiterHint : 1
; COMPUTE_PGM_RSRC2:SCRATCH_EN: 0
; COMPUTE_PGM_RSRC2:USER_SGPR: 6
; COMPUTE_PGM_RSRC2:TRAP_HANDLER: 0
; COMPUTE_PGM_RSRC2:TGID_X_EN: 1
; COMPUTE_PGM_RSRC2:TGID_Y_EN: 0
; COMPUTE_PGM_RSRC2:TGID_Z_EN: 0
; COMPUTE_PGM_RSRC2:TIDIG_COMP_CNT: 0
	.text
	.protected	_Z12kernel_magicfPKiS0_Piii ; -- Begin function _Z12kernel_magicfPKiS0_Piii
	.globl	_Z12kernel_magicfPKiS0_Piii
	.p2align	8
	.type	_Z12kernel_magicfPKiS0_Piii,@function
_Z12kernel_magicfPKiS0_Piii:            ; @_Z12kernel_magicfPKiS0_Piii
; %bb.0:
	s_clause 0x1
	s_load_dword s2, s[4:5], 0x34
	s_load_dwordx2 s[0:1], s[4:5], 0x20
	s_waitcnt lgkmcnt(0)
	s_and_b32 s2, s2, 0xffff
	v_mad_u64_u32 v[4:5], null, s6, s2, v[0:1]
	v_cmp_gt_i32_e32 vcc_lo, s1, v4
	s_and_saveexec_b32 s1, vcc_lo
	s_cbranch_execz .LBB11_4
; %bb.1:
	s_load_dwordx2 s[2:3], s[4:5], 0x18
	v_ashrrev_i32_e32 v5, 31, v4
	v_lshlrev_b64 v[2:3], 2, v[4:5]
	s_waitcnt lgkmcnt(0)
	v_add_co_u32 v0, vcc_lo, s2, v2
	v_add_co_ci_u32_e64 v1, null, s3, v3, vcc_lo
	global_load_dword v5, v[0:1], off
	s_waitcnt vmcnt(0)
	v_cmp_gt_i32_e32 vcc_lo, 0, v5
	s_and_b32 exec_lo, exec_lo, vcc_lo
	s_cbranch_execz .LBB11_4
; %bb.2:
	s_load_dwordx4 s[8:11], s[4:5], 0x8
	v_lshlrev_b32_e32 v4, 2, v4
	s_lshl_b32 s0, s0, 2
	s_load_dword s4, s[4:5], 0x0
	s_ashr_i32 s1, s0, 31
	v_ashrrev_i32_e32 v5, 31, v4
	s_lshl_b64 s[0:1], s[0:1], 2
	v_lshlrev_b64 v[4:5], 2, v[4:5]
	s_waitcnt lgkmcnt(0)
	v_add_co_u32 v2, vcc_lo, s8, v2
	v_add_co_ci_u32_e64 v3, null, s9, v3, vcc_lo
	v_add_co_u32 v4, vcc_lo, s10, v4
	v_add_co_ci_u32_e64 v5, null, s11, v5, vcc_lo
	global_load_dword v6, v[2:3], off
	global_load_dwordx4 v[2:5], v[4:5], off
	s_add_u32 s0, s10, s0
	s_addc_u32 s1, s11, s1
	s_load_dwordx4 s[0:3], s[0:1], 0x0
	s_waitcnt vmcnt(1)
	v_cvt_f32_i32_e32 v6, v6
	s_waitcnt vmcnt(0) lgkmcnt(0)
	v_min_i32_e32 v2, s0, v2
	v_min_i32_e32 v3, s1, v3
	v_mul_f32_e32 v6, s4, v6
	v_add_nc_u32_e32 v2, v3, v2
	v_min_i32_e32 v3, s2, v4
	v_min_i32_e32 v4, s3, v5
	v_ceil_f32_e32 v5, v6
	v_add3_u32 v2, v2, v3, v4
	v_cvt_i32_f32_e32 v3, v5
	v_cmp_gt_i32_e32 vcc_lo, v2, v3
	s_and_b32 exec_lo, exec_lo, vcc_lo
	s_cbranch_execz .LBB11_4
; %bb.3:
	v_mov_b32_e32 v2, -2
	global_store_dword v[0:1], v2, off
.LBB11_4:
	s_endpgm
	.section	.rodata,"a",@progbits
	.p2align	6, 0x0
	.amdhsa_kernel _Z12kernel_magicfPKiS0_Piii
		.amdhsa_group_segment_fixed_size 0
		.amdhsa_private_segment_fixed_size 0
		.amdhsa_kernarg_size 296
		.amdhsa_user_sgpr_count 6
		.amdhsa_user_sgpr_private_segment_buffer 1
		.amdhsa_user_sgpr_dispatch_ptr 0
		.amdhsa_user_sgpr_queue_ptr 0
		.amdhsa_user_sgpr_kernarg_segment_ptr 1
		.amdhsa_user_sgpr_dispatch_id 0
		.amdhsa_user_sgpr_flat_scratch_init 0
		.amdhsa_user_sgpr_private_segment_size 0
		.amdhsa_wavefront_size32 1
		.amdhsa_uses_dynamic_stack 0
		.amdhsa_system_sgpr_private_segment_wavefront_offset 0
		.amdhsa_system_sgpr_workgroup_id_x 1
		.amdhsa_system_sgpr_workgroup_id_y 0
		.amdhsa_system_sgpr_workgroup_id_z 0
		.amdhsa_system_sgpr_workgroup_info 0
		.amdhsa_system_vgpr_workitem_id 0
		.amdhsa_next_free_vgpr 7
		.amdhsa_next_free_sgpr 12
		.amdhsa_reserve_vcc 1
		.amdhsa_reserve_flat_scratch 0
		.amdhsa_float_round_mode_32 0
		.amdhsa_float_round_mode_16_64 0
		.amdhsa_float_denorm_mode_32 3
		.amdhsa_float_denorm_mode_16_64 3
		.amdhsa_dx10_clamp 1
		.amdhsa_ieee_mode 1
		.amdhsa_fp16_overflow 0
		.amdhsa_workgroup_processor_mode 1
		.amdhsa_memory_ordered 1
		.amdhsa_forward_progress 1
		.amdhsa_shared_vgpr_count 0
		.amdhsa_exception_fp_ieee_invalid_op 0
		.amdhsa_exception_fp_denorm_src 0
		.amdhsa_exception_fp_ieee_div_zero 0
		.amdhsa_exception_fp_ieee_overflow 0
		.amdhsa_exception_fp_ieee_underflow 0
		.amdhsa_exception_fp_ieee_inexact 0
		.amdhsa_exception_int_div_zero 0
	.end_amdhsa_kernel
	.text
.Lfunc_end11:
	.size	_Z12kernel_magicfPKiS0_Piii, .Lfunc_end11-_Z12kernel_magicfPKiS0_Piii
                                        ; -- End function
	.set _Z12kernel_magicfPKiS0_Piii.num_vgpr, 7
	.set _Z12kernel_magicfPKiS0_Piii.num_agpr, 0
	.set _Z12kernel_magicfPKiS0_Piii.numbered_sgpr, 12
	.set _Z12kernel_magicfPKiS0_Piii.num_named_barrier, 0
	.set _Z12kernel_magicfPKiS0_Piii.private_seg_size, 0
	.set _Z12kernel_magicfPKiS0_Piii.uses_vcc, 1
	.set _Z12kernel_magicfPKiS0_Piii.uses_flat_scratch, 0
	.set _Z12kernel_magicfPKiS0_Piii.has_dyn_sized_stack, 0
	.set _Z12kernel_magicfPKiS0_Piii.has_recursion, 0
	.set _Z12kernel_magicfPKiS0_Piii.has_indirect_call, 0
	.section	.AMDGPU.csdata,"",@progbits
; Kernel info:
; codeLenInByte = 308
; TotalNumSgprs: 14
; NumVgprs: 7
; ScratchSize: 0
; MemoryBound: 0
; FloatMode: 240
; IeeeMode: 1
; LDSByteSize: 0 bytes/workgroup (compile time only)
; SGPRBlocks: 0
; VGPRBlocks: 0
; NumSGPRsForWavesPerEU: 14
; NumVGPRsForWavesPerEU: 7
; Occupancy: 16
; WaveLimiterHint : 0
; COMPUTE_PGM_RSRC2:SCRATCH_EN: 0
; COMPUTE_PGM_RSRC2:USER_SGPR: 6
; COMPUTE_PGM_RSRC2:TRAP_HANDLER: 0
; COMPUTE_PGM_RSRC2:TGID_X_EN: 1
; COMPUTE_PGM_RSRC2:TGID_Y_EN: 0
; COMPUTE_PGM_RSRC2:TGID_Z_EN: 0
; COMPUTE_PGM_RSRC2:TIDIG_COMP_CNT: 0
	.text
	.protected	_Z13kernel_filterfiPKiPKlPKtS4_S2_S0_PiS4_i ; -- Begin function _Z13kernel_filterfiPKiPKlPKtS4_S2_S0_PiS4_i
	.globl	_Z13kernel_filterfiPKiPKlPKtS4_S2_S0_PiS4_i
	.p2align	8
	.type	_Z13kernel_filterfiPKiPKlPKtS4_S2_S0_PiS4_i,@function
_Z13kernel_filterfiPKiPKlPKtS4_S2_S0_PiS4_i: ; @_Z13kernel_filterfiPKiPKlPKtS4_S2_S0_PiS4_i
; %bb.0:
	s_load_dword s0, s[4:5], 0x48
	s_waitcnt lgkmcnt(0)
	s_cmp_ge_i32 s6, s0
	s_cbranch_scc1 .LBB12_8
; %bb.1:
	s_load_dwordx4 s[16:19], s[4:5], 0x30
	s_ashr_i32 s7, s6, 31
	s_lshl_b64 s[20:21], s[6:7], 2
	s_waitcnt lgkmcnt(0)
	s_add_u32 s2, s18, s20
	s_addc_u32 s3, s19, s21
	s_load_dword s0, s[2:3], 0x0
	s_waitcnt lgkmcnt(0)
	s_cmp_lg_u32 s0, -2
	s_cbranch_scc1 .LBB12_8
; %bb.2:
	s_load_dwordx8 s[8:15], s[4:5], 0x10
	s_lshl_b64 s[6:7], s[6:7], 3
	v_lshlrev_b32_e32 v5, 2, v0
	v_mov_b32_e32 v7, 0
	s_waitcnt lgkmcnt(0)
	s_add_u32 s0, s8, s6
	s_addc_u32 s1, s9, s7
	s_add_u32 s6, s14, s6
	s_load_dword s0, s[0:1], 0x0
	s_addc_u32 s7, s15, s7
	s_load_dword s1, s[6:7], 0x0
	s_load_dwordx4 s[4:7], s[4:5], 0x40
	ds_write_b32 v5, v7
	s_waitcnt lgkmcnt(0)
	v_add_nc_u32_e32 v6, s0, v0
	s_add_i32 s6, s1, s0
	s_mov_b32 s1, exec_lo
	v_cmpx_gt_i32_e64 s6, v6
	s_cbranch_execz .LBB12_6
; %bb.3:
	s_ashr_i32 s7, s0, 31
	v_add_co_u32 v1, s0, s0, v0
	v_add_co_ci_u32_e64 v2, null, s7, 0, s0
	s_mov_b32 s7, 0
	v_lshlrev_b64 v[3:4], 1, v[1:2]
	v_add_co_u32 v1, vcc_lo, s10, v3
	v_add_co_ci_u32_e64 v2, null, s11, v4, vcc_lo
	v_add_co_u32 v3, vcc_lo, s12, v3
	v_add_co_ci_u32_e64 v4, null, s13, v4, vcc_lo
	.p2align	6
.LBB12_4:                               ; =>This Inner Loop Header: Depth=1
	global_load_ushort v8, v[1:2], off
	v_add_nc_u32_e32 v6, 0x80, v6
	v_add_co_u32 v1, vcc_lo, 0x100, v1
	v_add_co_ci_u32_e64 v2, null, 0, v2, vcc_lo
	v_cmp_le_i32_e64 s0, s6, v6
	s_or_b32 s7, s0, s7
	s_waitcnt vmcnt(0)
	v_lshlrev_b32_e32 v8, 1, v8
	global_load_ushort v9, v[3:4], off
	global_load_ushort v8, v8, s[4:5]
	v_add_co_u32 v3, vcc_lo, 0x100, v3
	v_add_co_ci_u32_e64 v4, null, 0, v4, vcc_lo
	s_waitcnt vmcnt(0)
	v_min_u16 v8, v8, v9
	v_add_nc_u32_sdwa v7, v7, v8 dst_sel:DWORD dst_unused:UNUSED_PAD src0_sel:DWORD src1_sel:WORD_0
	s_andn2_b32 exec_lo, exec_lo, s7
	s_cbranch_execnz .LBB12_4
; %bb.5:
	s_or_b32 exec_lo, exec_lo, s7
	ds_write_b32 v5, v7
.LBB12_6:
	s_or_b32 exec_lo, exec_lo, s1
	s_waitcnt lgkmcnt(0)
	s_barrier
	buffer_gl0_inv
	s_mov_b32 s0, exec_lo
	v_cmpx_eq_u32_e32 0, v0
	s_cbranch_execz .LBB12_8
; %bb.7:
	v_mov_b32_e32 v0, 0
	s_add_u32 s0, s16, s20
	s_addc_u32 s1, s17, s21
	ds_read_b128 v[1:4], v0
	ds_read_b128 v[5:8], v0 offset:16
	s_load_dword s0, s[0:1], 0x0
	s_waitcnt lgkmcnt(0)
	v_add_nc_u32_e32 v1, v1, v2
	v_add_nc_u32_e32 v1, v1, v3
	;; [unrolled: 1-line block ×3, first 2 shown]
	ds_read_b128 v[1:4], v0 offset:32
	v_add_nc_u32_e32 v5, v9, v5
	v_add_nc_u32_e32 v5, v5, v6
	v_add_nc_u32_e32 v5, v5, v7
	v_add_nc_u32_e32 v9, v5, v8
	ds_read_b128 v[5:8], v0 offset:48
	s_waitcnt lgkmcnt(1)
	v_add_nc_u32_e32 v1, v9, v1
	v_add_nc_u32_e32 v1, v1, v2
	v_add_nc_u32_e32 v1, v1, v3
	v_add_nc_u32_e32 v9, v1, v4
	ds_read_b128 v[1:4], v0 offset:64
	s_waitcnt lgkmcnt(1)
	;; [unrolled: 6-line block ×29, first 2 shown]
	v_add_nc_u32_e32 v1, v9, v1
	v_add_nc_u32_e32 v1, v1, v2
	;; [unrolled: 1-line block ×4, first 2 shown]
	s_waitcnt lgkmcnt(0)
	v_add_nc_u32_e32 v1, v1, v5
	v_add_nc_u32_e32 v1, v1, v6
	;; [unrolled: 1-line block ×4, first 2 shown]
	v_cmp_lt_i32_e32 vcc_lo, s0, v1
	ds_write_b32 v0, v1
	v_cndmask_b32_e64 v2, -1, -3, vcc_lo
	s_waitcnt lgkmcnt(0)
	global_store_dword v0, v2, s[2:3]
.LBB12_8:
	s_endpgm
	.section	.rodata,"a",@progbits
	.p2align	6, 0x0
	.amdhsa_kernel _Z13kernel_filterfiPKiPKlPKtS4_S2_S0_PiS4_i
		.amdhsa_group_segment_fixed_size 512
		.amdhsa_private_segment_fixed_size 0
		.amdhsa_kernarg_size 76
		.amdhsa_user_sgpr_count 6
		.amdhsa_user_sgpr_private_segment_buffer 1
		.amdhsa_user_sgpr_dispatch_ptr 0
		.amdhsa_user_sgpr_queue_ptr 0
		.amdhsa_user_sgpr_kernarg_segment_ptr 1
		.amdhsa_user_sgpr_dispatch_id 0
		.amdhsa_user_sgpr_flat_scratch_init 0
		.amdhsa_user_sgpr_private_segment_size 0
		.amdhsa_wavefront_size32 1
		.amdhsa_uses_dynamic_stack 0
		.amdhsa_system_sgpr_private_segment_wavefront_offset 0
		.amdhsa_system_sgpr_workgroup_id_x 1
		.amdhsa_system_sgpr_workgroup_id_y 0
		.amdhsa_system_sgpr_workgroup_id_z 0
		.amdhsa_system_sgpr_workgroup_info 0
		.amdhsa_system_vgpr_workitem_id 0
		.amdhsa_next_free_vgpr 10
		.amdhsa_next_free_sgpr 22
		.amdhsa_reserve_vcc 1
		.amdhsa_reserve_flat_scratch 0
		.amdhsa_float_round_mode_32 0
		.amdhsa_float_round_mode_16_64 0
		.amdhsa_float_denorm_mode_32 3
		.amdhsa_float_denorm_mode_16_64 3
		.amdhsa_dx10_clamp 1
		.amdhsa_ieee_mode 1
		.amdhsa_fp16_overflow 0
		.amdhsa_workgroup_processor_mode 1
		.amdhsa_memory_ordered 1
		.amdhsa_forward_progress 1
		.amdhsa_shared_vgpr_count 0
		.amdhsa_exception_fp_ieee_invalid_op 0
		.amdhsa_exception_fp_denorm_src 0
		.amdhsa_exception_fp_ieee_div_zero 0
		.amdhsa_exception_fp_ieee_overflow 0
		.amdhsa_exception_fp_ieee_underflow 0
		.amdhsa_exception_fp_ieee_inexact 0
		.amdhsa_exception_int_div_zero 0
	.end_amdhsa_kernel
	.text
.Lfunc_end12:
	.size	_Z13kernel_filterfiPKiPKlPKtS4_S2_S0_PiS4_i, .Lfunc_end12-_Z13kernel_filterfiPKiPKlPKtS4_S2_S0_PiS4_i
                                        ; -- End function
	.set _Z13kernel_filterfiPKiPKlPKtS4_S2_S0_PiS4_i.num_vgpr, 10
	.set _Z13kernel_filterfiPKiPKlPKtS4_S2_S0_PiS4_i.num_agpr, 0
	.set _Z13kernel_filterfiPKiPKlPKtS4_S2_S0_PiS4_i.numbered_sgpr, 22
	.set _Z13kernel_filterfiPKiPKlPKtS4_S2_S0_PiS4_i.num_named_barrier, 0
	.set _Z13kernel_filterfiPKiPKlPKtS4_S2_S0_PiS4_i.private_seg_size, 0
	.set _Z13kernel_filterfiPKiPKlPKtS4_S2_S0_PiS4_i.uses_vcc, 1
	.set _Z13kernel_filterfiPKiPKlPKtS4_S2_S0_PiS4_i.uses_flat_scratch, 0
	.set _Z13kernel_filterfiPKiPKlPKtS4_S2_S0_PiS4_i.has_dyn_sized_stack, 0
	.set _Z13kernel_filterfiPKiPKlPKtS4_S2_S0_PiS4_i.has_recursion, 0
	.set _Z13kernel_filterfiPKiPKlPKtS4_S2_S0_PiS4_i.has_indirect_call, 0
	.section	.AMDGPU.csdata,"",@progbits
; Kernel info:
; codeLenInByte = 1364
; TotalNumSgprs: 24
; NumVgprs: 10
; ScratchSize: 0
; MemoryBound: 0
; FloatMode: 240
; IeeeMode: 1
; LDSByteSize: 512 bytes/workgroup (compile time only)
; SGPRBlocks: 0
; VGPRBlocks: 1
; NumSGPRsForWavesPerEU: 24
; NumVGPRsForWavesPerEU: 10
; Occupancy: 16
; WaveLimiterHint : 1
; COMPUTE_PGM_RSRC2:SCRATCH_EN: 0
; COMPUTE_PGM_RSRC2:USER_SGPR: 6
; COMPUTE_PGM_RSRC2:TRAP_HANDLER: 0
; COMPUTE_PGM_RSRC2:TGID_X_EN: 1
; COMPUTE_PGM_RSRC2:TGID_Y_EN: 0
; COMPUTE_PGM_RSRC2:TGID_Z_EN: 0
; COMPUTE_PGM_RSRC2:TIDIG_COMP_CNT: 0
	.text
	.protected	_Z12kernel_alignfPKiPKlPKjS0_iPii ; -- Begin function _Z12kernel_alignfPKiPKlPKjS0_iPii
	.globl	_Z12kernel_alignfPKiPKlPKjS0_iPii
	.p2align	8
	.type	_Z12kernel_alignfPKiPKlPKjS0_iPii,@function
_Z12kernel_alignfPKiPKlPKjS0_iPii:      ; @_Z12kernel_alignfPKiPKlPKjS0_iPii
; %bb.0:
	s_add_u32 s0, s0, s7
	s_clause 0x1
	s_load_dword s7, s[4:5], 0x4c
	s_load_dword s8, s[4:5], 0x38
	s_addc_u32 s1, s1, 0
	s_waitcnt lgkmcnt(0)
	s_and_b32 s7, s7, 0xffff
	v_mad_u64_u32 v[0:1], null, s6, s7, v[0:1]
	s_mov_b32 s6, exec_lo
	v_cmpx_gt_i32_e64 s8, v0
	s_cbranch_execz .LBB13_56
; %bb.1:
	s_load_dwordx2 s[6:7], s[4:5], 0x30
	v_ashrrev_i32_e32 v1, 31, v0
	v_lshlrev_b64 v[2:3], 2, v[0:1]
	s_waitcnt lgkmcnt(0)
	v_add_co_u32 v66, vcc_lo, s6, v2
	v_add_co_ci_u32_e64 v67, null, s7, v3, vcc_lo
	global_load_dword v4, v[66:67], off
	s_waitcnt vmcnt(0)
	v_cmp_eq_u32_e32 vcc_lo, -3, v4
	s_and_b32 exec_lo, exec_lo, vcc_lo
	s_cbranch_execz .LBB13_56
; %bb.2:
	s_load_dwordx8 s[8:15], s[4:5], 0x8
	v_lshlrev_b64 v[0:1], 3, v[0:1]
	s_load_dword s6, s[4:5], 0x28
	s_waitcnt lgkmcnt(0)
	v_add_co_u32 v4, vcc_lo, s8, v2
	v_add_co_ci_u32_e64 v5, null, s9, v3, vcc_lo
	v_add_co_u32 v6, vcc_lo, s14, v2
	v_add_co_ci_u32_e64 v7, null, s15, v3, vcc_lo
	;; [unrolled: 2-line block ×3, first 2 shown]
	global_load_dword v3, v[4:5], off
	global_load_dword v2, v[6:7], off
	global_load_dwordx2 v[0:1], v[0:1], off
	s_ashr_i32 s7, s6, 31
	v_mov_b32_e32 v4, 0
	s_lshl_b64 s[16:17], s[6:7], 2
	s_add_u32 s18, s8, s16
	s_addc_u32 s19, s9, s17
	s_add_u32 s8, s14, s16
	s_addc_u32 s9, s15, s17
	s_lshl_b64 s[14:15], s[6:7], 3
	s_add_u32 s10, s10, s14
	s_addc_u32 s11, s11, s15
	s_load_dword s7, s[8:9], 0x0
	s_load_dwordx2 s[8:9], s[10:11], 0x0
	s_load_dword s10, s[18:19], 0x0
	s_mov_b32 s11, 1
.LBB13_3:                               ; =>This Inner Loop Header: Depth=1
	s_add_i32 s14, s11, 16
	s_add_i32 s14, s14, -1
	v_mov_b32_e32 v5, s14
	s_add_i32 s14, s11, 1
	s_cmpk_lt_u32 s11, 0x1770
	s_mov_b32 s11, s14
	buffer_store_byte v4, v5, s[0:3], 0 offen
	s_cbranch_scc1 .LBB13_3
; %bb.4:
	v_mov_b32_e32 v4, 0
	s_mov_b32 s11, 1
.LBB13_5:                               ; =>This Inner Loop Header: Depth=1
	s_add_i32 s14, s11, 0x1780
	s_add_i32 s14, s14, -1
	v_mov_b32_e32 v5, s14
	s_add_i32 s14, s11, 1
	s_cmpk_lt_u32 s11, 0x1770
	s_mov_b32 s11, s14
	buffer_store_byte v4, v5, s[0:3], 0 offen
	s_cbranch_scc1 .LBB13_5
; %bb.6:
	s_waitcnt vmcnt(1)
	v_sub_nc_u32_e32 v2, v3, v2
	v_cmp_lt_i32_e32 vcc_lo, -16, v2
	s_and_b32 exec_lo, exec_lo, vcc_lo
	s_cbranch_execz .LBB13_56
; %bb.7:
	s_load_dword s4, s[4:5], 0x0
	v_ashrrev_i32_e32 v4, 31, v2
	s_waitcnt vmcnt(0)
	v_ashrrev_i32_e32 v5, 31, v1
	v_cvt_f32_i32_e32 v3, v3
	s_waitcnt lgkmcnt(0)
	s_sub_i32 s5, s10, s7
	s_ashr_i32 s7, s9, 31
	v_lshrrev_b32_e32 v4, 28, v4
	v_lshrrev_b32_e32 v5, 28, v5
	s_lshr_b32 s7, s7, 28
	v_mov_b32_e32 v16, 0
	s_add_u32 s8, s8, s7
	v_add_nc_u32_e32 v4, v2, v4
	v_add_co_u32 v0, vcc_lo, v0, v5
	s_addc_u32 s9, s9, 0
	s_ashr_i32 s7, s5, 31
	v_add_co_ci_u32_e64 v1, null, 0, v1, vcc_lo
	v_and_b32_e32 v5, -16, v4
	s_lshr_b32 s7, s7, 28
	v_mul_f32_e32 v3, s4, v3
	s_add_i32 s7, s5, s7
	v_mov_b32_e32 v70, 0
	s_lshr_b64 s[8:9], s[8:9], 4
	s_ashr_i32 s7, s7, 4
	v_ceil_f32_e32 v3, v3
	v_ashrrev_i32_e32 v71, 4, v4
	v_alignbit_b32 v72, v1, v0, 4
	v_sub_nc_u32_e32 v73, v2, v5
	v_mov_b32_e32 v33, 0
	v_cvt_i32_f32_e32 v74, v3
	s_cmp_gt_i32 s5, -16
	s_mov_b32 s9, 0
	s_cselect_b32 s10, -1, 0
	s_branch .LBB13_11
.LBB13_8:                               ;   in Loop: Header=BB13_11 Depth=1
	s_or_b32 exec_lo, exec_lo, s14
.LBB13_9:                               ;   in Loop: Header=BB13_11 Depth=1
	v_cmp_ne_u32_e32 vcc_lo, 23, v53
	v_cndmask_b32_e32 v54, 0, v53, vcc_lo
.LBB13_10:                              ;   in Loop: Header=BB13_11 Depth=1
	s_or_b32 exec_lo, exec_lo, s11
	v_cmp_ne_u32_e32 vcc_lo, 0, v54
	v_cmp_ge_i32_e64 s4, v70, v71
	v_add_nc_u32_e32 v70, 1, v70
	s_or_b32 s4, vcc_lo, s4
	s_and_b32 s4, exec_lo, s4
	s_or_b32 s9, s4, s9
	s_andn2_b32 exec_lo, exec_lo, s9
	s_cbranch_execz .LBB13_56
.LBB13_11:                              ; =>This Loop Header: Depth=1
                                        ;     Child Loop BB13_14 Depth 2
                                        ;       Child Loop BB13_16 Depth 3
                                        ;     Child Loop BB13_37 Depth 2
                                        ;       Child Loop BB13_39 Depth 3
	v_add_nc_u32_e32 v0, v70, v72
	v_mov_b32_e32 v54, 8
	v_ashrrev_i32_e32 v1, 31, v0
	v_lshlrev_b64 v[0:1], 2, v[0:1]
	v_add_co_u32 v68, vcc_lo, s12, v0
	v_add_co_ci_u32_e64 v69, null, s13, v1, vcc_lo
	s_andn2_b32 vcc_lo, exec_lo, s10
	s_cbranch_vccnz .LBB13_33
; %bb.12:                               ;   in Loop: Header=BB13_11 Depth=1
	global_load_dword v0, v[68:69], off
	v_mov_b32_e32 v31, 0
	v_mov_b32_e32 v1, v16
	;; [unrolled: 1-line block ×16, first 2 shown]
	s_mov_b32 s11, 0
	s_mov_b32 s14, 0
	v_cmp_eq_u32_e32 vcc_lo, v70, v71
	s_waitcnt vmcnt(0)
	v_lshrrev_b32_e32 v18, 30, v0
	v_lshrrev_b32_e32 v19, 28, v0
	;; [unrolled: 1-line block ×13, first 2 shown]
	v_mov_b32_e32 v65, v31
	v_mov_b32_e32 v50, v16
	;; [unrolled: 1-line block ×32, first 2 shown]
	s_branch .LBB13_14
.LBB13_13:                              ;   in Loop: Header=BB13_14 Depth=2
	s_or_b32 exec_lo, exec_lo, s16
	s_and_b32 s4, exec_lo, s15
	s_or_b32 s11, s4, s11
	s_andn2_b32 exec_lo, exec_lo, s11
	s_cbranch_execz .LBB13_32
.LBB13_14:                              ;   Parent Loop BB13_11 Depth=1
                                        ; =>  This Loop Header: Depth=2
                                        ;       Child Loop BB13_16 Depth 3
	s_add_i32 s16, s14, s8
	v_lshl_add_u32 v1, v31, 1, 0x1780
	s_ashr_i32 s17, s16, 31
	v_mov_b32_e32 v53, 30
	s_lshl_b64 s[16:17], s[16:17], 2
	s_mov_b32 s15, 0
	s_add_u32 s16, s12, s16
	s_addc_u32 s17, s13, s17
	buffer_load_sshort v2, v1, s[0:3], 0 offen
	global_load_dword v1, v16, s[16:17]
	s_branch .LBB13_16
.LBB13_15:                              ;   in Loop: Header=BB13_16 Depth=3
	s_or_b32 exec_lo, exec_lo, s17
	s_and_b32 s4, exec_lo, s4
	s_or_b32 s15, s4, s15
	s_andn2_b32 exec_lo, exec_lo, s15
	s_cbranch_execz .LBB13_30
.LBB13_16:                              ;   Parent Loop BB13_11 Depth=1
                                        ;     Parent Loop BB13_14 Depth=2
                                        ; =>    This Inner Loop Header: Depth=3
	v_lshlrev_b32_e32 v15, 1, v31
	s_waitcnt vmcnt(0)
	v_lshrrev_b32_e32 v17, v53, v1
	v_bfe_u32 v4, v1, v53, 2
	v_add_nc_u32_e32 v54, 1, v31
	s_mov_b32 s18, 0
	v_add_nc_u32_e32 v56, 0x1780, v15
	v_xor_b32_e32 v5, v19, v17
	v_cmp_eq_u32_e64 s4, v18, v4
	v_xor_b32_e32 v6, v20, v17
	v_xor_b32_sdwa v7, v0, v17 dst_sel:DWORD dst_unused:UNUSED_PAD src0_sel:BYTE_3 src1_sel:DWORD
	buffer_load_sshort v3, v56, s[0:3], 0 offen offset:2
	v_and_b32_e32 v5, 3, v5
	v_add_co_ci_u32_e64 v4, null, 0, v2, s4
	v_and_b32_e32 v6, 3, v6
	v_xor_b32_e32 v8, v21, v17
	v_cmp_eq_u32_e64 s4, 0, v5
	v_and_b32_e32 v7, 3, v7
	v_xor_b32_e32 v9, v22, v17
	v_xor_b32_e32 v10, v23, v17
	v_and_b32_e32 v8, 3, v8
	v_add_co_ci_u32_e64 v5, null, 0, v35, s4
	v_cmp_eq_u32_e64 s4, 0, v6
	v_and_b32_e32 v9, 3, v9
	v_xor_b32_sdwa v11, v0, v17 dst_sel:DWORD dst_unused:UNUSED_PAD src0_sel:WORD_1 src1_sel:DWORD
	v_and_b32_e32 v10, 3, v10
	v_xor_b32_e32 v12, v24, v17
	v_add_co_ci_u32_e64 v6, null, 0, v36, s4
	v_cmp_eq_u32_e64 s4, 0, v7
	v_and_b32_e32 v11, 3, v11
	v_xor_b32_e32 v13, v25, v17
	v_and_b32_e32 v12, 3, v12
	v_xor_b32_e32 v14, v26, v17
	v_add_co_ci_u32_e64 v7, null, 0, v37, s4
	v_cmp_eq_u32_e64 s4, 0, v8
	v_and_b32_e32 v13, 3, v13
	v_xor_b32_e32 v32, v27, v17
	;; [unrolled: 6-line block ×3, first 2 shown]
	v_and_b32_e32 v34, 3, v34
	v_xor_b32_e32 v52, v30, v17
	v_add_co_ci_u32_e64 v9, null, 0, v39, s4
	v_cmp_eq_u32_e64 s4, 0, v10
	v_and_b32_e32 v51, 3, v51
	v_and_b32_e32 v52, 3, v52
	v_xor_b32_e32 v17, v0, v17
	v_add_nc_u32_e32 v57, 16, v15
	v_add_co_ci_u32_e64 v10, null, 0, v40, s4
	v_cmp_eq_u32_e64 s4, 0, v11
	v_and_b32_e32 v17, 3, v17
                                        ; implicit-def: $sgpr16
                                        ; implicit-def: $vgpr15
                                        ; implicit-def: $vgpr55
	v_add_co_ci_u32_e64 v11, null, 0, v41, s4
	v_cmp_eq_u32_e64 s4, 0, v12
	v_add_co_ci_u32_e64 v12, null, 0, v42, s4
	v_cmp_eq_u32_e64 s4, 0, v13
	;; [unrolled: 2-line block ×8, first 2 shown]
	v_add_co_ci_u32_e64 v17, null, 0, v49, s4
	v_cmp_ne_u32_e64 s4, s5, v54
                                        ; implicit-def: $vgpr54
	s_waitcnt vmcnt(0)
	v_max3_i32 v4, v4, v3, v35
	v_max3_i32 v5, v5, v4, v36
	;; [unrolled: 1-line block ×16, first 2 shown]
	buffer_store_short v17, v57, s[0:3], 0 offen offset:2
	s_and_saveexec_b32 s17, s4
	s_xor_b32 s17, exec_lo, s17
	s_cbranch_execz .LBB13_26
; %bb.17:                               ;   in Loop: Header=BB13_16 Depth=3
	buffer_load_sshort v2, v56, s[0:3], 0 offen offset:4
	v_add_nc_u32_e32 v15, -2, v53
	v_add_nc_u32_e32 v31, 2, v31
	v_mov_b32_e32 v54, 0
	s_mov_b32 s19, 0
	s_mov_b32 s16, -1
	v_lshrrev_b32_e32 v50, v15, v1
	v_bfe_u32 v36, v1, v15, 2
	s_mov_b32 s18, exec_lo
                                        ; implicit-def: $vgpr55
	v_xor_b32_e32 v35, v19, v50
	v_cmp_eq_u32_e64 s4, v18, v36
	v_xor_b32_sdwa v38, v0, v50 dst_sel:DWORD dst_unused:UNUSED_PAD src0_sel:BYTE_3 src1_sel:DWORD
	v_xor_b32_e32 v39, v21, v50
	v_xor_b32_e32 v40, v22, v50
	v_and_b32_e32 v35, 3, v35
	v_add_co_ci_u32_e64 v36, null, 0, v3, s4
	v_and_b32_e32 v38, 3, v38
	v_and_b32_e32 v39, 3, v39
	v_cmp_eq_u32_e64 s4, 0, v35
	v_and_b32_e32 v40, 3, v40
	v_xor_b32_e32 v41, v23, v50
	v_xor_b32_sdwa v42, v0, v50 dst_sel:DWORD dst_unused:UNUSED_PAD src0_sel:WORD_1 src1_sel:DWORD
	v_xor_b32_e32 v43, v24, v50
	v_add_co_ci_u32_e64 v37, null, 0, v4, s4
	v_and_b32_e32 v41, 3, v41
	v_and_b32_e32 v42, 3, v42
	;; [unrolled: 1-line block ×3, first 2 shown]
	v_xor_b32_e32 v44, v25, v50
	v_xor_b32_e32 v45, v26, v50
	;; [unrolled: 1-line block ×5, first 2 shown]
	v_and_b32_e32 v44, 3, v44
	v_and_b32_e32 v45, 3, v45
	;; [unrolled: 1-line block ×5, first 2 shown]
	v_xor_b32_e32 v49, v30, v50
	v_and_b32_e32 v49, 3, v49
	s_waitcnt vmcnt(0)
	v_max3_i32 v35, v36, v2, v4
	v_max3_i32 v36, v37, v35, v5
	v_xor_b32_e32 v37, v20, v50
	v_xor_b32_e32 v50, v0, v50
	v_and_b32_e32 v37, 3, v37
	v_and_b32_e32 v50, 3, v50
	v_cmp_eq_u32_e64 s4, 0, v37
	v_add_co_ci_u32_e64 v37, null, 0, v5, s4
	v_cmp_eq_u32_e64 s4, 0, v38
	v_max3_i32 v37, v37, v36, v6
	v_add_co_ci_u32_e64 v38, null, 0, v6, s4
	v_cmp_eq_u32_e64 s4, 0, v39
	v_max3_i32 v38, v38, v37, v7
	;; [unrolled: 3-line block ×13, first 2 shown]
	v_add_co_ci_u32_e64 v50, null, 0, v52, s4
	v_max3_i32 v50, v50, v49, v17
	buffer_store_short v50, v57, s[0:3], 0 offen offset:4
	v_cmpx_eq_u32_e64 s5, v31
	s_cbranch_execz .LBB13_21
; %bb.18:                               ;   in Loop: Header=BB13_16 Depth=3
                                        ; implicit-def: $vgpr55
	s_and_saveexec_b32 s4, vcc_lo
	s_xor_b32 s16, exec_lo, s4
	s_cbranch_execz .LBB13_20
; %bb.19:                               ;   in Loop: Header=BB13_16 Depth=3
	v_cmp_eq_u32_e64 s4, 1, v73
	s_mov_b32 s19, exec_lo
	v_cndmask_b32_e64 v31, v2, v35, s4
	v_cmp_eq_u32_e64 s4, 2, v73
	v_cndmask_b32_e64 v31, v31, v36, s4
	v_cmp_eq_u32_e64 s4, 3, v73
	;; [unrolled: 2-line block ×15, first 2 shown]
	v_cndmask_b32_e64 v55, v31, v50, s4
.LBB13_20:                              ;   in Loop: Header=BB13_16 Depth=3
	s_or_b32 exec_lo, exec_lo, s16
	v_mov_b32_e32 v54, 11
	v_mov_b32_e32 v31, s5
	s_xor_b32 s16, exec_lo, -1
	s_and_b32 s19, s19, exec_lo
.LBB13_21:                              ;   in Loop: Header=BB13_16 Depth=3
	s_or_b32 exec_lo, exec_lo, s18
	s_and_b32 s18, s19, exec_lo
                                        ; implicit-def: $vgpr53
	s_andn2_saveexec_b32 s17, s17
	s_cbranch_execnz .LBB13_27
.LBB13_22:                              ;   in Loop: Header=BB13_16 Depth=3
	s_or_b32 exec_lo, exec_lo, s17
	s_and_saveexec_b32 s17, s18
	s_cbranch_execz .LBB13_24
.LBB13_23:                              ;   in Loop: Header=BB13_16 Depth=3
	v_cmp_ge_i32_e64 s4, v55, v74
	v_mov_b32_e32 v54, 1
	v_mov_b32_e32 v31, s5
	s_andn2_b32 s16, s16, exec_lo
	v_cndmask_b32_e64 v3, -1, s6, s4
	global_store_dword v[66:67], v3, off
.LBB13_24:                              ;   in Loop: Header=BB13_16 Depth=3
	s_or_b32 exec_lo, exec_lo, s17
	s_mov_b32 s4, -1
                                        ; implicit-def: $vgpr53
	s_and_saveexec_b32 s17, s16
	s_cbranch_execz .LBB13_15
; %bb.25:                               ;   in Loop: Header=BB13_16 Depth=3
	v_cmp_gt_i32_e64 s4, 2, v15
	v_add_nc_u32_e32 v53, -2, v15
	v_mov_b32_e32 v54, 11
	s_orn2_b32 s4, s4, exec_lo
	s_branch .LBB13_15
.LBB13_26:                              ;   in Loop: Header=BB13_16 Depth=3
	s_andn2_saveexec_b32 s17, s17
	s_cbranch_execz .LBB13_22
.LBB13_27:                              ;   in Loop: Header=BB13_16 Depth=3
	s_mov_b32 s4, s18
                                        ; implicit-def: $vgpr55
	s_and_saveexec_b32 s19, vcc_lo
	s_cbranch_execz .LBB13_29
; %bb.28:                               ;   in Loop: Header=BB13_16 Depth=3
	v_cmp_eq_u32_e64 s4, 1, v73
	v_cndmask_b32_e64 v3, v3, v4, s4
	v_cmp_eq_u32_e64 s4, 2, v73
	v_cndmask_b32_e64 v3, v3, v5, s4
	;; [unrolled: 2-line block ×16, first 2 shown]
	s_or_b32 s4, s18, exec_lo
.LBB13_29:                              ;   in Loop: Header=BB13_16 Depth=3
	s_or_b32 exec_lo, exec_lo, s19
	v_mov_b32_e32 v54, 11
	v_mov_b32_e32 v31, s5
	;; [unrolled: 1-line block ×3, first 2 shown]
	s_andn2_b32 s18, s18, exec_lo
	s_and_b32 s4, s4, exec_lo
	s_andn2_b32 s16, s16, exec_lo
	s_or_b32 s18, s18, s4
	s_or_b32 exec_lo, exec_lo, s17
	s_and_saveexec_b32 s17, s18
	s_cbranch_execz .LBB13_24
	s_branch .LBB13_23
.LBB13_30:                              ;   in Loop: Header=BB13_14 Depth=2
	s_or_b32 exec_lo, exec_lo, s15
	s_mov_b32 s15, -1
	s_mov_b32 s16, exec_lo
	v_cmpx_eq_u32_e32 11, v54
	s_cbranch_execz .LBB13_13
; %bb.31:                               ;   in Loop: Header=BB13_14 Depth=2
	s_add_i32 s4, s14, 1
	s_cmp_eq_u32 s14, s7
	v_mov_b32_e32 v54, 8
	s_cselect_b32 s14, -1, 0
	s_orn2_b32 s15, s14, exec_lo
	s_mov_b32 s14, s4
	s_branch .LBB13_13
.LBB13_32:                              ;   in Loop: Header=BB13_11 Depth=1
	s_or_b32 exec_lo, exec_lo, s11
	v_mov_b32_e32 v48, v32
	v_mov_b32_e32 v33, v17
	;; [unrolled: 1-line block ×32, first 2 shown]
.LBB13_33:                              ;   in Loop: Header=BB13_11 Depth=1
	s_mov_b32 s11, exec_lo
	v_cmpx_eq_u32_e32 8, v54
	s_cbranch_execz .LBB13_10
; %bb.34:                               ;   in Loop: Header=BB13_11 Depth=1
	v_add_nc_u32_e32 v70, 1, v70
	v_mov_b32_e32 v53, 23
	s_andn2_b32 vcc_lo, exec_lo, s10
	s_cbranch_vccnz .LBB13_55
; %bb.35:                               ;   in Loop: Header=BB13_11 Depth=1
	global_load_dword v17, v[68:69], off offset:4
	v_mov_b32_e32 v31, 0
	v_mov_b32_e32 v0, v16
	;; [unrolled: 1-line block ×17, first 2 shown]
	s_mov_b32 s14, 0
	s_mov_b32 s15, 0
	v_cmp_eq_u32_e32 vcc_lo, v70, v71
	s_waitcnt vmcnt(0)
	v_lshrrev_b32_e32 v18, 30, v17
	v_lshrrev_b32_e32 v19, 28, v17
	;; [unrolled: 1-line block ×13, first 2 shown]
	v_mov_b32_e32 v65, v31
	v_mov_b32_e32 v50, v16
	;; [unrolled: 1-line block ×32, first 2 shown]
	s_branch .LBB13_37
.LBB13_36:                              ;   in Loop: Header=BB13_37 Depth=2
	s_or_b32 exec_lo, exec_lo, s17
	s_and_b32 s4, exec_lo, s16
	s_or_b32 s14, s4, s14
	s_andn2_b32 exec_lo, exec_lo, s14
	s_cbranch_execz .LBB13_8
.LBB13_37:                              ;   Parent Loop BB13_11 Depth=1
                                        ; =>  This Loop Header: Depth=2
                                        ;       Child Loop BB13_39 Depth 3
	s_add_i32 s16, s15, s8
	v_mov_b32_e32 v52, 30
	s_ashr_i32 s17, s16, 31
	s_lshl_b64 s[16:17], s[16:17], 2
	s_add_u32 s16, s12, s16
	s_addc_u32 s17, s13, s17
	global_load_dword v0, v16, s[16:17]
	s_mov_b32 s16, 0
	s_branch .LBB13_39
.LBB13_38:                              ;   in Loop: Header=BB13_39 Depth=3
	s_or_b32 exec_lo, exec_lo, s18
	s_and_b32 s4, exec_lo, s4
	s_or_b32 s16, s4, s16
	s_andn2_b32 exec_lo, exec_lo, s16
	s_cbranch_execz .LBB13_53
.LBB13_39:                              ;   Parent Loop BB13_11 Depth=1
                                        ;     Parent Loop BB13_37 Depth=2
                                        ; =>    This Inner Loop Header: Depth=3
	v_lshlrev_b32_e32 v11, 1, v31
	s_waitcnt vmcnt(0)
	v_lshrrev_b32_e32 v32, v52, v0
	v_bfe_u32 v2, v0, v52, 2
	s_mov_b32 s19, 0
                                        ; implicit-def: $sgpr17
                                        ; implicit-def: $vgpr55
	v_add_nc_u32_e32 v54, 16, v11
	v_xor_b32_e32 v3, v19, v32
	v_cmp_eq_u32_e64 s4, v18, v2
	v_xor_b32_e32 v4, v20, v32
	v_xor_b32_sdwa v5, v17, v32 dst_sel:DWORD dst_unused:UNUSED_PAD src0_sel:BYTE_3 src1_sel:DWORD
	buffer_load_sshort v1, v54, s[0:3], 0 offen offset:2
	v_and_b32_e32 v3, 3, v3
	v_add_co_ci_u32_e64 v2, null, 0, v34, s4
	v_and_b32_e32 v4, 3, v4
	v_xor_b32_e32 v6, v21, v32
	v_cmp_eq_u32_e64 s4, 0, v3
	v_and_b32_e32 v5, 3, v5
	v_xor_b32_e32 v7, v22, v32
	v_xor_b32_e32 v8, v23, v32
	v_and_b32_e32 v6, 3, v6
	v_add_co_ci_u32_e64 v3, null, 0, v35, s4
	v_cmp_eq_u32_e64 s4, 0, v4
	v_and_b32_e32 v7, 3, v7
	v_xor_b32_sdwa v9, v17, v32 dst_sel:DWORD dst_unused:UNUSED_PAD src0_sel:WORD_1 src1_sel:DWORD
	v_and_b32_e32 v8, 3, v8
	v_xor_b32_e32 v10, v24, v32
	v_add_co_ci_u32_e64 v4, null, 0, v36, s4
	v_cmp_eq_u32_e64 s4, 0, v5
	v_and_b32_e32 v9, 3, v9
	v_xor_b32_e32 v12, v25, v32
	v_and_b32_e32 v10, 3, v10
	v_xor_b32_e32 v13, v26, v32
	v_add_co_ci_u32_e64 v5, null, 0, v37, s4
	v_cmp_eq_u32_e64 s4, 0, v6
	v_and_b32_e32 v12, 3, v12
	v_xor_b32_e32 v14, v27, v32
	;; [unrolled: 6-line block ×3, first 2 shown]
	v_and_b32_e32 v15, 3, v15
	v_xor_b32_e32 v51, v30, v32
	v_add_co_ci_u32_e64 v7, null, 0, v39, s4
	v_cmp_eq_u32_e64 s4, 0, v8
	v_and_b32_e32 v33, 3, v33
	v_and_b32_e32 v51, 3, v51
	v_xor_b32_e32 v53, v17, v32
	v_add_nc_u32_e32 v56, 0x1780, v11
	v_add_co_ci_u32_e64 v8, null, 0, v40, s4
	v_cmp_eq_u32_e64 s4, 0, v9
                                        ; implicit-def: $vgpr11
	v_add_co_ci_u32_e64 v9, null, 0, v41, s4
	v_cmp_eq_u32_e64 s4, 0, v10
	v_add_co_ci_u32_e64 v10, null, 0, v42, s4
	v_cmp_eq_u32_e64 s4, 0, v12
	;; [unrolled: 2-line block ×7, first 2 shown]
	v_add_co_ci_u32_e64 v51, null, 0, v48, s4
	s_waitcnt vmcnt(0)
	v_max3_i32 v2, v2, v1, v35
	v_max3_i32 v3, v3, v2, v36
	;; [unrolled: 1-line block ×14, first 2 shown]
	v_and_b32_e32 v33, 3, v53
	v_add_nc_u32_e32 v53, 1, v31
	v_max3_i32 v51, v51, v32, v49
	v_cmp_eq_u32_e64 s4, 0, v33
	v_add_co_ci_u32_e64 v33, null, 0, v49, s4
	v_cmp_ne_u32_e64 s4, s5, v53
                                        ; implicit-def: $vgpr53
	v_max3_i32 v33, v33, v51, v50
	buffer_store_short v33, v56, s[0:3], 0 offen offset:2
	s_and_saveexec_b32 s18, s4
	s_xor_b32 s18, exec_lo, s18
	s_cbranch_execz .LBB13_49
; %bb.40:                               ;   in Loop: Header=BB13_39 Depth=3
	v_add_nc_u32_e32 v11, -2, v52
	v_add_nc_u32_e32 v31, 2, v31
	v_mov_b32_e32 v53, 0
	s_mov_b32 s20, 0
	s_mov_b32 s17, -1
	v_bfe_u32 v34, v0, v11, 2
	v_lshrrev_b32_e32 v50, v11, v0
	s_mov_b32 s19, exec_lo
                                        ; implicit-def: $vgpr55
	v_cmp_eq_u32_e64 s4, v18, v34
	buffer_load_sshort v34, v54, s[0:3], 0 offen offset:4
	v_xor_b32_e32 v36, v19, v50
	v_xor_b32_e32 v37, v20, v50
	v_xor_b32_sdwa v38, v17, v50 dst_sel:DWORD dst_unused:UNUSED_PAD src0_sel:BYTE_3 src1_sel:DWORD
	v_add_co_ci_u32_e64 v35, null, 0, v1, s4
	v_and_b32_e32 v36, 3, v36
	v_and_b32_e32 v37, 3, v37
	;; [unrolled: 1-line block ×3, first 2 shown]
	v_xor_b32_e32 v39, v21, v50
	v_xor_b32_e32 v40, v22, v50
	v_cmp_eq_u32_e64 s4, 0, v36
	v_xor_b32_e32 v41, v23, v50
	v_xor_b32_sdwa v42, v17, v50 dst_sel:DWORD dst_unused:UNUSED_PAD src0_sel:WORD_1 src1_sel:DWORD
	v_and_b32_e32 v39, 3, v39
	v_and_b32_e32 v40, 3, v40
	v_add_co_ci_u32_e64 v36, null, 0, v2, s4
	v_cmp_eq_u32_e64 s4, 0, v37
	v_and_b32_e32 v41, 3, v41
	v_and_b32_e32 v42, 3, v42
	v_xor_b32_e32 v43, v24, v50
	v_xor_b32_e32 v44, v25, v50
	v_add_co_ci_u32_e64 v37, null, 0, v3, s4
	v_cmp_eq_u32_e64 s4, 0, v38
	v_and_b32_e32 v43, 3, v43
	v_and_b32_e32 v44, 3, v44
	v_xor_b32_e32 v45, v26, v50
	v_xor_b32_e32 v46, v27, v50
	;; [unrolled: 6-line block ×4, first 2 shown]
	v_add_co_ci_u32_e64 v40, null, 0, v6, s4
	v_cmp_eq_u32_e64 s4, 0, v41
	v_and_b32_e32 v49, 3, v49
	v_and_b32_e32 v50, 3, v50
	v_add_co_ci_u32_e64 v41, null, 0, v7, s4
	v_cmp_eq_u32_e64 s4, 0, v42
	v_add_co_ci_u32_e64 v42, null, 0, v8, s4
	v_cmp_eq_u32_e64 s4, 0, v43
	;; [unrolled: 2-line block ×9, first 2 shown]
	v_add_co_ci_u32_e64 v50, null, 0, v51, s4
	s_waitcnt vmcnt(0)
	v_max3_i32 v35, v35, v34, v2
	v_max3_i32 v36, v36, v35, v3
	;; [unrolled: 1-line block ×16, first 2 shown]
	buffer_store_short v50, v56, s[0:3], 0 offen offset:4
	v_cmpx_eq_u32_e64 s5, v31
	s_cbranch_execz .LBB13_44
; %bb.41:                               ;   in Loop: Header=BB13_39 Depth=3
                                        ; implicit-def: $vgpr55
	s_and_saveexec_b32 s4, vcc_lo
	s_xor_b32 s17, exec_lo, s4
	s_cbranch_execz .LBB13_43
; %bb.42:                               ;   in Loop: Header=BB13_39 Depth=3
	v_cmp_eq_u32_e64 s4, 1, v73
	s_mov_b32 s20, exec_lo
	v_cndmask_b32_e64 v31, v34, v35, s4
	v_cmp_eq_u32_e64 s4, 2, v73
	v_cndmask_b32_e64 v31, v31, v36, s4
	v_cmp_eq_u32_e64 s4, 3, v73
	;; [unrolled: 2-line block ×15, first 2 shown]
	v_cndmask_b32_e64 v55, v31, v50, s4
.LBB13_43:                              ;   in Loop: Header=BB13_39 Depth=3
	s_or_b32 exec_lo, exec_lo, s17
	v_mov_b32_e32 v53, 26
	v_mov_b32_e32 v31, s5
	s_xor_b32 s17, exec_lo, -1
	s_and_b32 s20, s20, exec_lo
.LBB13_44:                              ;   in Loop: Header=BB13_39 Depth=3
	s_or_b32 exec_lo, exec_lo, s19
	s_and_b32 s19, s20, exec_lo
                                        ; implicit-def: $vgpr52
	s_andn2_saveexec_b32 s18, s18
	s_cbranch_execnz .LBB13_50
.LBB13_45:                              ;   in Loop: Header=BB13_39 Depth=3
	s_or_b32 exec_lo, exec_lo, s18
	s_and_saveexec_b32 s18, s19
	s_cbranch_execz .LBB13_47
.LBB13_46:                              ;   in Loop: Header=BB13_39 Depth=3
	v_cmp_ge_i32_e64 s4, v55, v74
	v_mov_b32_e32 v53, 1
	v_mov_b32_e32 v31, s5
	s_andn2_b32 s17, s17, exec_lo
	v_cndmask_b32_e64 v1, -1, s6, s4
	global_store_dword v[66:67], v1, off
.LBB13_47:                              ;   in Loop: Header=BB13_39 Depth=3
	s_or_b32 exec_lo, exec_lo, s18
	s_mov_b32 s4, -1
                                        ; implicit-def: $vgpr52
	s_and_saveexec_b32 s18, s17
	s_cbranch_execz .LBB13_38
; %bb.48:                               ;   in Loop: Header=BB13_39 Depth=3
	v_cmp_gt_i32_e64 s4, 2, v11
	v_add_nc_u32_e32 v52, -2, v11
	v_mov_b32_e32 v53, 26
	s_orn2_b32 s4, s4, exec_lo
	s_branch .LBB13_38
.LBB13_49:                              ;   in Loop: Header=BB13_39 Depth=3
	s_andn2_saveexec_b32 s18, s18
	s_cbranch_execz .LBB13_45
.LBB13_50:                              ;   in Loop: Header=BB13_39 Depth=3
	s_mov_b32 s4, s19
                                        ; implicit-def: $vgpr55
	s_and_saveexec_b32 s20, vcc_lo
	s_cbranch_execz .LBB13_52
; %bb.51:                               ;   in Loop: Header=BB13_39 Depth=3
	v_cmp_eq_u32_e64 s4, 1, v73
	v_cndmask_b32_e64 v1, v1, v2, s4
	v_cmp_eq_u32_e64 s4, 2, v73
	v_cndmask_b32_e64 v1, v1, v3, s4
	;; [unrolled: 2-line block ×16, first 2 shown]
	s_or_b32 s4, s19, exec_lo
.LBB13_52:                              ;   in Loop: Header=BB13_39 Depth=3
	s_or_b32 exec_lo, exec_lo, s20
	v_mov_b32_e32 v53, 26
	v_mov_b32_e32 v31, s5
	;; [unrolled: 1-line block ×3, first 2 shown]
	s_andn2_b32 s19, s19, exec_lo
	s_and_b32 s4, s4, exec_lo
	s_andn2_b32 s17, s17, exec_lo
	s_or_b32 s19, s19, s4
	s_or_b32 exec_lo, exec_lo, s18
	s_and_saveexec_b32 s18, s19
	s_cbranch_execz .LBB13_47
	s_branch .LBB13_46
.LBB13_53:                              ;   in Loop: Header=BB13_37 Depth=2
	s_or_b32 exec_lo, exec_lo, s16
	s_mov_b32 s16, -1
	s_mov_b32 s17, exec_lo
	v_cmpx_eq_u32_e32 26, v53
	s_cbranch_execz .LBB13_36
; %bb.54:                               ;   in Loop: Header=BB13_37 Depth=2
	s_add_i32 s4, s15, 1
	s_cmp_eq_u32 s15, s7
	v_mov_b32_e32 v53, 23
	s_cselect_b32 s15, -1, 0
	s_orn2_b32 s16, s15, exec_lo
	s_mov_b32 s15, s4
	s_branch .LBB13_36
.LBB13_55:                              ;   in Loop: Header=BB13_11 Depth=1
	v_mov_b32_e32 v48, v31
	v_mov_b32_e32 v47, v30
	;; [unrolled: 1-line block ×32, first 2 shown]
	s_branch .LBB13_9
.LBB13_56:
	s_endpgm
	.section	.rodata,"a",@progbits
	.p2align	6, 0x0
	.amdhsa_kernel _Z12kernel_alignfPKiPKlPKjS0_iPii
		.amdhsa_group_segment_fixed_size 0
		.amdhsa_private_segment_fixed_size 12016
		.amdhsa_kernarg_size 320
		.amdhsa_user_sgpr_count 6
		.amdhsa_user_sgpr_private_segment_buffer 1
		.amdhsa_user_sgpr_dispatch_ptr 0
		.amdhsa_user_sgpr_queue_ptr 0
		.amdhsa_user_sgpr_kernarg_segment_ptr 1
		.amdhsa_user_sgpr_dispatch_id 0
		.amdhsa_user_sgpr_flat_scratch_init 0
		.amdhsa_user_sgpr_private_segment_size 0
		.amdhsa_wavefront_size32 1
		.amdhsa_uses_dynamic_stack 0
		.amdhsa_system_sgpr_private_segment_wavefront_offset 1
		.amdhsa_system_sgpr_workgroup_id_x 1
		.amdhsa_system_sgpr_workgroup_id_y 0
		.amdhsa_system_sgpr_workgroup_id_z 0
		.amdhsa_system_sgpr_workgroup_info 0
		.amdhsa_system_vgpr_workitem_id 0
		.amdhsa_next_free_vgpr 75
		.amdhsa_next_free_sgpr 21
		.amdhsa_reserve_vcc 1
		.amdhsa_reserve_flat_scratch 0
		.amdhsa_float_round_mode_32 0
		.amdhsa_float_round_mode_16_64 0
		.amdhsa_float_denorm_mode_32 3
		.amdhsa_float_denorm_mode_16_64 3
		.amdhsa_dx10_clamp 1
		.amdhsa_ieee_mode 1
		.amdhsa_fp16_overflow 0
		.amdhsa_workgroup_processor_mode 1
		.amdhsa_memory_ordered 1
		.amdhsa_forward_progress 1
		.amdhsa_shared_vgpr_count 0
		.amdhsa_exception_fp_ieee_invalid_op 0
		.amdhsa_exception_fp_denorm_src 0
		.amdhsa_exception_fp_ieee_div_zero 0
		.amdhsa_exception_fp_ieee_overflow 0
		.amdhsa_exception_fp_ieee_underflow 0
		.amdhsa_exception_fp_ieee_inexact 0
		.amdhsa_exception_int_div_zero 0
	.end_amdhsa_kernel
	.text
.Lfunc_end13:
	.size	_Z12kernel_alignfPKiPKlPKjS0_iPii, .Lfunc_end13-_Z12kernel_alignfPKiPKlPKjS0_iPii
                                        ; -- End function
	.set _Z12kernel_alignfPKiPKlPKjS0_iPii.num_vgpr, 75
	.set _Z12kernel_alignfPKiPKlPKjS0_iPii.num_agpr, 0
	.set _Z12kernel_alignfPKiPKlPKjS0_iPii.numbered_sgpr, 21
	.set _Z12kernel_alignfPKiPKlPKjS0_iPii.num_named_barrier, 0
	.set _Z12kernel_alignfPKiPKlPKjS0_iPii.private_seg_size, 12016
	.set _Z12kernel_alignfPKiPKlPKjS0_iPii.uses_vcc, 1
	.set _Z12kernel_alignfPKiPKlPKjS0_iPii.uses_flat_scratch, 0
	.set _Z12kernel_alignfPKiPKlPKjS0_iPii.has_dyn_sized_stack, 0
	.set _Z12kernel_alignfPKiPKlPKjS0_iPii.has_recursion, 0
	.set _Z12kernel_alignfPKiPKlPKjS0_iPii.has_indirect_call, 0
	.section	.AMDGPU.csdata,"",@progbits
; Kernel info:
; codeLenInByte = 5564
; TotalNumSgprs: 23
; NumVgprs: 75
; ScratchSize: 12016
; MemoryBound: 0
; FloatMode: 240
; IeeeMode: 1
; LDSByteSize: 0 bytes/workgroup (compile time only)
; SGPRBlocks: 0
; VGPRBlocks: 9
; NumSGPRsForWavesPerEU: 23
; NumVGPRsForWavesPerEU: 75
; Occupancy: 12
; WaveLimiterHint : 1
; COMPUTE_PGM_RSRC2:SCRATCH_EN: 1
; COMPUTE_PGM_RSRC2:USER_SGPR: 6
; COMPUTE_PGM_RSRC2:TRAP_HANDLER: 0
; COMPUTE_PGM_RSRC2:TGID_X_EN: 1
; COMPUTE_PGM_RSRC2:TGID_Y_EN: 0
; COMPUTE_PGM_RSRC2:TGID_Z_EN: 0
; COMPUTE_PGM_RSRC2:TIDIG_COMP_CNT: 0
	.text
	.p2alignl 6, 3214868480
	.fill 48, 4, 3214868480
	.section	.AMDGPU.gpr_maximums,"",@progbits
	.set amdgpu.max_num_vgpr, 0
	.set amdgpu.max_num_agpr, 0
	.set amdgpu.max_num_sgpr, 0
	.text
	.type	__hip_cuid_f11927587fe2214b,@object ; @__hip_cuid_f11927587fe2214b
	.section	.bss,"aw",@nobits
	.globl	__hip_cuid_f11927587fe2214b
__hip_cuid_f11927587fe2214b:
	.byte	0                               ; 0x0
	.size	__hip_cuid_f11927587fe2214b, 1

	.ident	"AMD clang version 22.0.0git (https://github.com/RadeonOpenCompute/llvm-project roc-7.2.4 26084 f58b06dce1f9c15707c5f808fd002e18c2accf7e)"
	.section	".note.GNU-stack","",@progbits
	.addrsig
	.addrsig_sym __hip_cuid_f11927587fe2214b
	.amdgpu_metadata
---
amdhsa.kernels:
  - .args:
      - .address_space:  global
        .offset:         0
        .size:           8
        .value_kind:     global_buffer
      - .offset:         8
        .size:           8
        .value_kind:     by_value
      - .offset:         16
        .size:           4
        .value_kind:     hidden_block_count_x
      - .offset:         20
        .size:           4
        .value_kind:     hidden_block_count_y
      - .offset:         24
        .size:           4
        .value_kind:     hidden_block_count_z
      - .offset:         28
        .size:           2
        .value_kind:     hidden_group_size_x
      - .offset:         30
        .size:           2
        .value_kind:     hidden_group_size_y
      - .offset:         32
        .size:           2
        .value_kind:     hidden_group_size_z
      - .offset:         34
        .size:           2
        .value_kind:     hidden_remainder_x
      - .offset:         36
        .size:           2
        .value_kind:     hidden_remainder_y
      - .offset:         38
        .size:           2
        .value_kind:     hidden_remainder_z
      - .offset:         56
        .size:           8
        .value_kind:     hidden_global_offset_x
      - .offset:         64
        .size:           8
        .value_kind:     hidden_global_offset_y
      - .offset:         72
        .size:           8
        .value_kind:     hidden_global_offset_z
      - .offset:         80
        .size:           2
        .value_kind:     hidden_grid_dims
    .group_segment_fixed_size: 0
    .kernarg_segment_align: 8
    .kernarg_segment_size: 272
    .language:       OpenCL C
    .language_version:
      - 2
      - 0
    .max_flat_workgroup_size: 1024
    .name:           _Z19kernel_baseToNumberPcl
    .private_segment_fixed_size: 0
    .sgpr_count:     19
    .sgpr_spill_count: 0
    .symbol:         _Z19kernel_baseToNumberPcl.kd
    .uniform_work_group_size: 1
    .uses_dynamic_stack: false
    .vgpr_count:     23
    .vgpr_spill_count: 0
    .wavefront_size: 32
    .workgroup_processor_mode: 1
  - .args:
      - .address_space:  global
        .offset:         0
        .size:           8
        .value_kind:     global_buffer
      - .address_space:  global
        .offset:         8
        .size:           8
        .value_kind:     global_buffer
      - .address_space:  global
        .offset:         16
        .size:           8
        .value_kind:     global_buffer
      - .address_space:  global
        .offset:         24
        .size:           8
        .value_kind:     global_buffer
      - .address_space:  global
        .offset:         32
        .size:           8
        .value_kind:     global_buffer
      - .offset:         40
        .size:           4
        .value_kind:     by_value
      - .offset:         48
        .size:           4
        .value_kind:     hidden_block_count_x
      - .offset:         52
        .size:           4
        .value_kind:     hidden_block_count_y
      - .offset:         56
        .size:           4
        .value_kind:     hidden_block_count_z
      - .offset:         60
        .size:           2
        .value_kind:     hidden_group_size_x
      - .offset:         62
        .size:           2
        .value_kind:     hidden_group_size_y
      - .offset:         64
        .size:           2
        .value_kind:     hidden_group_size_z
      - .offset:         66
        .size:           2
        .value_kind:     hidden_remainder_x
      - .offset:         68
        .size:           2
        .value_kind:     hidden_remainder_y
      - .offset:         70
        .size:           2
        .value_kind:     hidden_remainder_z
      - .offset:         88
        .size:           8
        .value_kind:     hidden_global_offset_x
      - .offset:         96
        .size:           8
        .value_kind:     hidden_global_offset_y
      - .offset:         104
        .size:           8
        .value_kind:     hidden_global_offset_z
      - .offset:         112
        .size:           2
        .value_kind:     hidden_grid_dims
    .group_segment_fixed_size: 0
    .kernarg_segment_align: 8
    .kernarg_segment_size: 304
    .language:       OpenCL C
    .language_version:
      - 2
      - 0
    .max_flat_workgroup_size: 1024
    .name:           _Z19kernel_compressDataPKiPKlPKcPjPii
    .private_segment_fixed_size: 0
    .sgpr_count:     18
    .sgpr_spill_count: 0
    .symbol:         _Z19kernel_compressDataPKiPKlPKcPjPii.kd
    .uniform_work_group_size: 1
    .uses_dynamic_stack: false
    .vgpr_count:     14
    .vgpr_spill_count: 0
    .wavefront_size: 32
    .workgroup_processor_mode: 1
  - .args:
      - .address_space:  global
        .offset:         0
        .size:           8
        .value_kind:     global_buffer
      - .address_space:  global
        .offset:         8
        .size:           8
        .value_kind:     global_buffer
      - .address_space:  global
        .offset:         16
        .size:           8
        .value_kind:     global_buffer
      - .address_space:  global
        .offset:         24
        .size:           8
        .value_kind:     global_buffer
      - .address_space:  global
        .offset:         32
        .size:           8
        .value_kind:     global_buffer
      - .address_space:  global
        .offset:         40
        .size:           8
        .value_kind:     global_buffer
      - .address_space:  global
        .offset:         48
        .size:           8
        .value_kind:     global_buffer
      - .offset:         56
        .size:           4
        .value_kind:     by_value
      - .offset:         64
        .size:           4
        .value_kind:     hidden_block_count_x
      - .offset:         68
        .size:           4
        .value_kind:     hidden_block_count_y
      - .offset:         72
        .size:           4
        .value_kind:     hidden_block_count_z
      - .offset:         76
        .size:           2
        .value_kind:     hidden_group_size_x
      - .offset:         78
        .size:           2
        .value_kind:     hidden_group_size_y
      - .offset:         80
        .size:           2
        .value_kind:     hidden_group_size_z
      - .offset:         82
        .size:           2
        .value_kind:     hidden_remainder_x
      - .offset:         84
        .size:           2
        .value_kind:     hidden_remainder_y
      - .offset:         86
        .size:           2
        .value_kind:     hidden_remainder_z
      - .offset:         104
        .size:           8
        .value_kind:     hidden_global_offset_x
      - .offset:         112
        .size:           8
        .value_kind:     hidden_global_offset_y
      - .offset:         120
        .size:           8
        .value_kind:     hidden_global_offset_z
      - .offset:         128
        .size:           2
        .value_kind:     hidden_grid_dims
    .group_segment_fixed_size: 0
    .kernarg_segment_align: 8
    .kernarg_segment_size: 320
    .language:       OpenCL C
    .language_version:
      - 2
      - 0
    .max_flat_workgroup_size: 1024
    .name:           _Z19kernel_createIndex4PKcPKiPKlPtS5_PlPii
    .private_segment_fixed_size: 0
    .sgpr_count:     18
    .sgpr_spill_count: 0
    .symbol:         _Z19kernel_createIndex4PKcPKiPKlPtS5_PlPii.kd
    .uniform_work_group_size: 1
    .uses_dynamic_stack: false
    .vgpr_count:     25
    .vgpr_spill_count: 0
    .wavefront_size: 32
    .workgroup_processor_mode: 1
  - .args:
      - .address_space:  global
        .offset:         0
        .size:           8
        .value_kind:     global_buffer
      - .address_space:  global
        .offset:         8
        .size:           8
        .value_kind:     global_buffer
      - .address_space:  global
        .offset:         16
        .size:           8
        .value_kind:     global_buffer
      - .address_space:  global
        .offset:         24
        .size:           8
        .value_kind:     global_buffer
      - .address_space:  global
        .offset:         32
        .size:           8
        .value_kind:     global_buffer
      - .address_space:  global
        .offset:         40
        .size:           8
        .value_kind:     global_buffer
      - .address_space:  global
        .offset:         48
        .size:           8
        .value_kind:     global_buffer
      - .offset:         56
        .size:           4
        .value_kind:     by_value
      - .offset:         64
        .size:           4
        .value_kind:     hidden_block_count_x
      - .offset:         68
        .size:           4
        .value_kind:     hidden_block_count_y
      - .offset:         72
        .size:           4
        .value_kind:     hidden_block_count_z
      - .offset:         76
        .size:           2
        .value_kind:     hidden_group_size_x
      - .offset:         78
        .size:           2
        .value_kind:     hidden_group_size_y
      - .offset:         80
        .size:           2
        .value_kind:     hidden_group_size_z
      - .offset:         82
        .size:           2
        .value_kind:     hidden_remainder_x
      - .offset:         84
        .size:           2
        .value_kind:     hidden_remainder_y
      - .offset:         86
        .size:           2
        .value_kind:     hidden_remainder_z
      - .offset:         104
        .size:           8
        .value_kind:     hidden_global_offset_x
      - .offset:         112
        .size:           8
        .value_kind:     hidden_global_offset_y
      - .offset:         120
        .size:           8
        .value_kind:     hidden_global_offset_z
      - .offset:         128
        .size:           2
        .value_kind:     hidden_grid_dims
    .group_segment_fixed_size: 0
    .kernarg_segment_align: 8
    .kernarg_segment_size: 320
    .language:       OpenCL C
    .language_version:
      - 2
      - 0
    .max_flat_workgroup_size: 1024
    .name:           _Z19kernel_createIndex5PKcPKiPKlPtS5_PlPii
    .private_segment_fixed_size: 0
    .sgpr_count:     18
    .sgpr_spill_count: 0
    .symbol:         _Z19kernel_createIndex5PKcPKiPKlPtS5_PlPii.kd
    .uniform_work_group_size: 1
    .uses_dynamic_stack: false
    .vgpr_count:     31
    .vgpr_spill_count: 0
    .wavefront_size: 32
    .workgroup_processor_mode: 1
  - .args:
      - .address_space:  global
        .offset:         0
        .size:           8
        .value_kind:     global_buffer
      - .address_space:  global
        .offset:         8
        .size:           8
        .value_kind:     global_buffer
      - .address_space:  global
        .offset:         16
        .size:           8
        .value_kind:     global_buffer
      - .address_space:  global
        .offset:         24
        .size:           8
        .value_kind:     global_buffer
      - .address_space:  global
        .offset:         32
        .size:           8
        .value_kind:     global_buffer
      - .address_space:  global
        .offset:         40
        .size:           8
        .value_kind:     global_buffer
      - .address_space:  global
        .offset:         48
        .size:           8
        .value_kind:     global_buffer
      - .offset:         56
        .size:           4
        .value_kind:     by_value
      - .offset:         64
        .size:           4
        .value_kind:     hidden_block_count_x
      - .offset:         68
        .size:           4
        .value_kind:     hidden_block_count_y
      - .offset:         72
        .size:           4
        .value_kind:     hidden_block_count_z
      - .offset:         76
        .size:           2
        .value_kind:     hidden_group_size_x
      - .offset:         78
        .size:           2
        .value_kind:     hidden_group_size_y
      - .offset:         80
        .size:           2
        .value_kind:     hidden_group_size_z
      - .offset:         82
        .size:           2
        .value_kind:     hidden_remainder_x
      - .offset:         84
        .size:           2
        .value_kind:     hidden_remainder_y
      - .offset:         86
        .size:           2
        .value_kind:     hidden_remainder_z
      - .offset:         104
        .size:           8
        .value_kind:     hidden_global_offset_x
      - .offset:         112
        .size:           8
        .value_kind:     hidden_global_offset_y
      - .offset:         120
        .size:           8
        .value_kind:     hidden_global_offset_z
      - .offset:         128
        .size:           2
        .value_kind:     hidden_grid_dims
    .group_segment_fixed_size: 0
    .kernarg_segment_align: 8
    .kernarg_segment_size: 320
    .language:       OpenCL C
    .language_version:
      - 2
      - 0
    .max_flat_workgroup_size: 1024
    .name:           _Z19kernel_createIndex6PKcPKiPKlPtS5_PlPii
    .private_segment_fixed_size: 0
    .sgpr_count:     18
    .sgpr_spill_count: 0
    .symbol:         _Z19kernel_createIndex6PKcPKiPKlPtS5_PlPii.kd
    .uniform_work_group_size: 1
    .uses_dynamic_stack: false
    .vgpr_count:     31
    .vgpr_spill_count: 0
    .wavefront_size: 32
    .workgroup_processor_mode: 1
  - .args:
      - .address_space:  global
        .offset:         0
        .size:           8
        .value_kind:     global_buffer
      - .address_space:  global
        .offset:         8
        .size:           8
        .value_kind:     global_buffer
      - .address_space:  global
        .offset:         16
        .size:           8
        .value_kind:     global_buffer
      - .address_space:  global
        .offset:         24
        .size:           8
        .value_kind:     global_buffer
      - .address_space:  global
        .offset:         32
        .size:           8
        .value_kind:     global_buffer
      - .address_space:  global
        .offset:         40
        .size:           8
        .value_kind:     global_buffer
      - .address_space:  global
        .offset:         48
        .size:           8
        .value_kind:     global_buffer
      - .offset:         56
        .size:           4
        .value_kind:     by_value
      - .offset:         64
        .size:           4
        .value_kind:     hidden_block_count_x
      - .offset:         68
        .size:           4
        .value_kind:     hidden_block_count_y
      - .offset:         72
        .size:           4
        .value_kind:     hidden_block_count_z
      - .offset:         76
        .size:           2
        .value_kind:     hidden_group_size_x
      - .offset:         78
        .size:           2
        .value_kind:     hidden_group_size_y
      - .offset:         80
        .size:           2
        .value_kind:     hidden_group_size_z
      - .offset:         82
        .size:           2
        .value_kind:     hidden_remainder_x
      - .offset:         84
        .size:           2
        .value_kind:     hidden_remainder_y
      - .offset:         86
        .size:           2
        .value_kind:     hidden_remainder_z
      - .offset:         104
        .size:           8
        .value_kind:     hidden_global_offset_x
      - .offset:         112
        .size:           8
        .value_kind:     hidden_global_offset_y
      - .offset:         120
        .size:           8
        .value_kind:     hidden_global_offset_z
      - .offset:         128
        .size:           2
        .value_kind:     hidden_grid_dims
    .group_segment_fixed_size: 0
    .kernarg_segment_align: 8
    .kernarg_segment_size: 320
    .language:       OpenCL C
    .language_version:
      - 2
      - 0
    .max_flat_workgroup_size: 1024
    .name:           _Z19kernel_createIndex7PKcPKiPKlPtS5_PlPii
    .private_segment_fixed_size: 0
    .sgpr_count:     18
    .sgpr_spill_count: 0
    .symbol:         _Z19kernel_createIndex7PKcPKiPKlPtS5_PlPii.kd
    .uniform_work_group_size: 1
    .uses_dynamic_stack: false
    .vgpr_count:     34
    .vgpr_spill_count: 0
    .wavefront_size: 32
    .workgroup_processor_mode: 1
  - .args:
      - .offset:         0
        .size:           4
        .value_kind:     by_value
      - .offset:         4
        .size:           4
        .value_kind:     by_value
      - .address_space:  global
        .offset:         8
        .size:           8
        .value_kind:     global_buffer
      - .address_space:  global
        .offset:         16
        .size:           8
        .value_kind:     global_buffer
      - .address_space:  global
        .offset:         24
        .size:           8
        .value_kind:     global_buffer
      - .offset:         32
        .size:           4
        .value_kind:     by_value
      - .offset:         40
        .size:           4
        .value_kind:     hidden_block_count_x
      - .offset:         44
        .size:           4
        .value_kind:     hidden_block_count_y
      - .offset:         48
        .size:           4
        .value_kind:     hidden_block_count_z
      - .offset:         52
        .size:           2
        .value_kind:     hidden_group_size_x
      - .offset:         54
        .size:           2
        .value_kind:     hidden_group_size_y
      - .offset:         56
        .size:           2
        .value_kind:     hidden_group_size_z
      - .offset:         58
        .size:           2
        .value_kind:     hidden_remainder_x
      - .offset:         60
        .size:           2
        .value_kind:     hidden_remainder_y
      - .offset:         62
        .size:           2
        .value_kind:     hidden_remainder_z
      - .offset:         80
        .size:           8
        .value_kind:     hidden_global_offset_x
      - .offset:         88
        .size:           8
        .value_kind:     hidden_global_offset_y
      - .offset:         96
        .size:           8
        .value_kind:     hidden_global_offset_z
      - .offset:         104
        .size:           2
        .value_kind:     hidden_grid_dims
    .group_segment_fixed_size: 0
    .kernarg_segment_align: 8
    .kernarg_segment_size: 296
    .language:       OpenCL C
    .language_version:
      - 2
      - 0
    .max_flat_workgroup_size: 1024
    .name:           _Z19kernel_createCutofffiPKiPlPii
    .private_segment_fixed_size: 0
    .sgpr_count:     9
    .sgpr_spill_count: 0
    .symbol:         _Z19kernel_createCutofffiPKiPlPii.kd
    .uniform_work_group_size: 1
    .uses_dynamic_stack: false
    .vgpr_count:     6
    .vgpr_spill_count: 0
    .wavefront_size: 32
    .workgroup_processor_mode: 1
  - .args:
      - .address_space:  global
        .offset:         0
        .size:           8
        .value_kind:     global_buffer
      - .address_space:  global
        .offset:         8
        .size:           8
        .value_kind:     global_buffer
      - .address_space:  global
        .offset:         16
        .size:           8
        .value_kind:     global_buffer
      - .address_space:  global
        .offset:         24
        .size:           8
        .value_kind:     global_buffer
      - .offset:         32
        .size:           4
        .value_kind:     by_value
      - .offset:         40
        .size:           4
        .value_kind:     hidden_block_count_x
      - .offset:         44
        .size:           4
        .value_kind:     hidden_block_count_y
      - .offset:         48
        .size:           4
        .value_kind:     hidden_block_count_z
      - .offset:         52
        .size:           2
        .value_kind:     hidden_group_size_x
      - .offset:         54
        .size:           2
        .value_kind:     hidden_group_size_y
      - .offset:         56
        .size:           2
        .value_kind:     hidden_group_size_z
      - .offset:         58
        .size:           2
        .value_kind:     hidden_remainder_x
      - .offset:         60
        .size:           2
        .value_kind:     hidden_remainder_y
      - .offset:         62
        .size:           2
        .value_kind:     hidden_remainder_z
      - .offset:         80
        .size:           8
        .value_kind:     hidden_global_offset_x
      - .offset:         88
        .size:           8
        .value_kind:     hidden_global_offset_y
      - .offset:         96
        .size:           8
        .value_kind:     hidden_global_offset_z
      - .offset:         104
        .size:           2
        .value_kind:     hidden_grid_dims
    .group_segment_fixed_size: 0
    .kernarg_segment_align: 8
    .kernarg_segment_size: 296
    .language:       OpenCL C
    .language_version:
      - 2
      - 0
    .max_flat_workgroup_size: 1024
    .name:           _Z17kernel_mergeIndexPKlPKtPtS0_i
    .private_segment_fixed_size: 0
    .sgpr_count:     10
    .sgpr_spill_count: 0
    .symbol:         _Z17kernel_mergeIndexPKlPKtPtS0_i.kd
    .uniform_work_group_size: 1
    .uses_dynamic_stack: false
    .vgpr_count:     11
    .vgpr_spill_count: 0
    .wavefront_size: 32
    .workgroup_processor_mode: 1
  - .args:
      - .address_space:  global
        .offset:         0
        .size:           8
        .value_kind:     global_buffer
      - .address_space:  global
        .offset:         8
        .size:           8
        .value_kind:     global_buffer
      - .offset:         16
        .size:           4
        .value_kind:     by_value
    .group_segment_fixed_size: 0
    .kernarg_segment_align: 8
    .kernarg_segment_size: 20
    .language:       OpenCL C
    .language_version:
      - 2
      - 0
    .max_flat_workgroup_size: 1024
    .name:           _Z27kernel_updateRepresentativePiS_i
    .private_segment_fixed_size: 0
    .sgpr_count:     12
    .sgpr_spill_count: 0
    .symbol:         _Z27kernel_updateRepresentativePiS_i.kd
    .uniform_work_group_size: 1
    .uses_dynamic_stack: false
    .vgpr_count:     2
    .vgpr_spill_count: 0
    .wavefront_size: 32
    .workgroup_processor_mode: 1
  - .args:
      - .address_space:  global
        .offset:         0
        .size:           8
        .value_kind:     global_buffer
      - .address_space:  global
        .offset:         8
        .size:           8
        .value_kind:     global_buffer
      - .address_space:  global
        .offset:         16
        .size:           8
        .value_kind:     global_buffer
      - .address_space:  global
        .offset:         24
        .size:           8
        .value_kind:     global_buffer
      - .address_space:  global
        .offset:         32
        .size:           8
        .value_kind:     global_buffer
      - .offset:         40
        .size:           4
        .value_kind:     by_value
      - .offset:         48
        .size:           4
        .value_kind:     hidden_block_count_x
      - .offset:         52
        .size:           4
        .value_kind:     hidden_block_count_y
      - .offset:         56
        .size:           4
        .value_kind:     hidden_block_count_z
      - .offset:         60
        .size:           2
        .value_kind:     hidden_group_size_x
      - .offset:         62
        .size:           2
        .value_kind:     hidden_group_size_y
      - .offset:         64
        .size:           2
        .value_kind:     hidden_group_size_z
      - .offset:         66
        .size:           2
        .value_kind:     hidden_remainder_x
      - .offset:         68
        .size:           2
        .value_kind:     hidden_remainder_y
      - .offset:         70
        .size:           2
        .value_kind:     hidden_remainder_z
      - .offset:         88
        .size:           8
        .value_kind:     hidden_global_offset_x
      - .offset:         96
        .size:           8
        .value_kind:     hidden_global_offset_y
      - .offset:         104
        .size:           8
        .value_kind:     hidden_global_offset_z
      - .offset:         112
        .size:           2
        .value_kind:     hidden_grid_dims
    .group_segment_fixed_size: 0
    .kernarg_segment_align: 8
    .kernarg_segment_size: 304
    .language:       OpenCL C
    .language_version:
      - 2
      - 0
    .max_flat_workgroup_size: 1024
    .name:           _Z16kernel_makeTablePKlPKtS2_S0_Pti
    .private_segment_fixed_size: 0
    .sgpr_count:     18
    .sgpr_spill_count: 0
    .symbol:         _Z16kernel_makeTablePKlPKtS2_S0_Pti.kd
    .uniform_work_group_size: 1
    .uses_dynamic_stack: false
    .vgpr_count:     7
    .vgpr_spill_count: 0
    .wavefront_size: 32
    .workgroup_processor_mode: 1
  - .args:
      - .address_space:  global
        .offset:         0
        .size:           8
        .value_kind:     global_buffer
      - .address_space:  global
        .offset:         8
        .size:           8
        .value_kind:     global_buffer
      - .address_space:  global
        .offset:         16
        .size:           8
        .value_kind:     global_buffer
      - .address_space:  global
        .offset:         24
        .size:           8
        .value_kind:     global_buffer
      - .address_space:  global
        .offset:         32
        .size:           8
        .value_kind:     global_buffer
      - .offset:         40
        .size:           4
        .value_kind:     by_value
      - .offset:         48
        .size:           4
        .value_kind:     hidden_block_count_x
      - .offset:         52
        .size:           4
        .value_kind:     hidden_block_count_y
      - .offset:         56
        .size:           4
        .value_kind:     hidden_block_count_z
      - .offset:         60
        .size:           2
        .value_kind:     hidden_group_size_x
      - .offset:         62
        .size:           2
        .value_kind:     hidden_group_size_y
      - .offset:         64
        .size:           2
        .value_kind:     hidden_group_size_z
      - .offset:         66
        .size:           2
        .value_kind:     hidden_remainder_x
      - .offset:         68
        .size:           2
        .value_kind:     hidden_remainder_y
      - .offset:         70
        .size:           2
        .value_kind:     hidden_remainder_z
      - .offset:         88
        .size:           8
        .value_kind:     hidden_global_offset_x
      - .offset:         96
        .size:           8
        .value_kind:     hidden_global_offset_y
      - .offset:         104
        .size:           8
        .value_kind:     hidden_global_offset_z
      - .offset:         112
        .size:           2
        .value_kind:     hidden_grid_dims
    .group_segment_fixed_size: 0
    .kernarg_segment_align: 8
    .kernarg_segment_size: 304
    .language:       OpenCL C
    .language_version:
      - 2
      - 0
    .max_flat_workgroup_size: 1024
    .name:           _Z17kernel_cleanTablePKlPKtS2_S0_Pti
    .private_segment_fixed_size: 0
    .sgpr_count:     18
    .sgpr_spill_count: 0
    .symbol:         _Z17kernel_cleanTablePKlPKtS2_S0_Pti.kd
    .uniform_work_group_size: 1
    .uses_dynamic_stack: false
    .vgpr_count:     7
    .vgpr_spill_count: 0
    .wavefront_size: 32
    .workgroup_processor_mode: 1
  - .args:
      - .offset:         0
        .size:           4
        .value_kind:     by_value
      - .address_space:  global
        .offset:         8
        .size:           8
        .value_kind:     global_buffer
      - .address_space:  global
        .offset:         16
        .size:           8
        .value_kind:     global_buffer
      - .address_space:  global
        .offset:         24
        .size:           8
        .value_kind:     global_buffer
      - .offset:         32
        .size:           4
        .value_kind:     by_value
      - .offset:         36
        .size:           4
        .value_kind:     by_value
      - .offset:         40
        .size:           4
        .value_kind:     hidden_block_count_x
      - .offset:         44
        .size:           4
        .value_kind:     hidden_block_count_y
      - .offset:         48
        .size:           4
        .value_kind:     hidden_block_count_z
      - .offset:         52
        .size:           2
        .value_kind:     hidden_group_size_x
      - .offset:         54
        .size:           2
        .value_kind:     hidden_group_size_y
      - .offset:         56
        .size:           2
        .value_kind:     hidden_group_size_z
      - .offset:         58
        .size:           2
        .value_kind:     hidden_remainder_x
      - .offset:         60
        .size:           2
        .value_kind:     hidden_remainder_y
      - .offset:         62
        .size:           2
        .value_kind:     hidden_remainder_z
      - .offset:         80
        .size:           8
        .value_kind:     hidden_global_offset_x
      - .offset:         88
        .size:           8
        .value_kind:     hidden_global_offset_y
      - .offset:         96
        .size:           8
        .value_kind:     hidden_global_offset_z
      - .offset:         104
        .size:           2
        .value_kind:     hidden_grid_dims
    .group_segment_fixed_size: 0
    .kernarg_segment_align: 8
    .kernarg_segment_size: 296
    .language:       OpenCL C
    .language_version:
      - 2
      - 0
    .max_flat_workgroup_size: 1024
    .name:           _Z12kernel_magicfPKiS0_Piii
    .private_segment_fixed_size: 0
    .sgpr_count:     14
    .sgpr_spill_count: 0
    .symbol:         _Z12kernel_magicfPKiS0_Piii.kd
    .uniform_work_group_size: 1
    .uses_dynamic_stack: false
    .vgpr_count:     7
    .vgpr_spill_count: 0
    .wavefront_size: 32
    .workgroup_processor_mode: 1
  - .args:
      - .offset:         0
        .size:           4
        .value_kind:     by_value
      - .offset:         4
        .size:           4
        .value_kind:     by_value
      - .address_space:  global
        .offset:         8
        .size:           8
        .value_kind:     global_buffer
      - .address_space:  global
        .offset:         16
        .size:           8
        .value_kind:     global_buffer
      - .address_space:  global
        .offset:         24
        .size:           8
        .value_kind:     global_buffer
      - .address_space:  global
        .offset:         32
        .size:           8
        .value_kind:     global_buffer
      - .address_space:  global
        .offset:         40
        .size:           8
        .value_kind:     global_buffer
      - .address_space:  global
        .offset:         48
        .size:           8
        .value_kind:     global_buffer
      - .address_space:  global
        .offset:         56
        .size:           8
        .value_kind:     global_buffer
      - .address_space:  global
        .offset:         64
        .size:           8
        .value_kind:     global_buffer
      - .offset:         72
        .size:           4
        .value_kind:     by_value
    .group_segment_fixed_size: 512
    .kernarg_segment_align: 8
    .kernarg_segment_size: 76
    .language:       OpenCL C
    .language_version:
      - 2
      - 0
    .max_flat_workgroup_size: 1024
    .name:           _Z13kernel_filterfiPKiPKlPKtS4_S2_S0_PiS4_i
    .private_segment_fixed_size: 0
    .sgpr_count:     24
    .sgpr_spill_count: 0
    .symbol:         _Z13kernel_filterfiPKiPKlPKtS4_S2_S0_PiS4_i.kd
    .uniform_work_group_size: 1
    .uses_dynamic_stack: false
    .vgpr_count:     10
    .vgpr_spill_count: 0
    .wavefront_size: 32
    .workgroup_processor_mode: 1
  - .args:
      - .offset:         0
        .size:           4
        .value_kind:     by_value
      - .address_space:  global
        .offset:         8
        .size:           8
        .value_kind:     global_buffer
      - .address_space:  global
        .offset:         16
        .size:           8
        .value_kind:     global_buffer
      - .address_space:  global
        .offset:         24
        .size:           8
        .value_kind:     global_buffer
      - .address_space:  global
        .offset:         32
        .size:           8
        .value_kind:     global_buffer
      - .offset:         40
        .size:           4
        .value_kind:     by_value
      - .address_space:  global
        .offset:         48
        .size:           8
        .value_kind:     global_buffer
      - .offset:         56
        .size:           4
        .value_kind:     by_value
      - .offset:         64
        .size:           4
        .value_kind:     hidden_block_count_x
      - .offset:         68
        .size:           4
        .value_kind:     hidden_block_count_y
      - .offset:         72
        .size:           4
        .value_kind:     hidden_block_count_z
      - .offset:         76
        .size:           2
        .value_kind:     hidden_group_size_x
      - .offset:         78
        .size:           2
        .value_kind:     hidden_group_size_y
      - .offset:         80
        .size:           2
        .value_kind:     hidden_group_size_z
      - .offset:         82
        .size:           2
        .value_kind:     hidden_remainder_x
      - .offset:         84
        .size:           2
        .value_kind:     hidden_remainder_y
      - .offset:         86
        .size:           2
        .value_kind:     hidden_remainder_z
      - .offset:         104
        .size:           8
        .value_kind:     hidden_global_offset_x
      - .offset:         112
        .size:           8
        .value_kind:     hidden_global_offset_y
      - .offset:         120
        .size:           8
        .value_kind:     hidden_global_offset_z
      - .offset:         128
        .size:           2
        .value_kind:     hidden_grid_dims
    .group_segment_fixed_size: 0
    .kernarg_segment_align: 8
    .kernarg_segment_size: 320
    .language:       OpenCL C
    .language_version:
      - 2
      - 0
    .max_flat_workgroup_size: 1024
    .name:           _Z12kernel_alignfPKiPKlPKjS0_iPii
    .private_segment_fixed_size: 12016
    .sgpr_count:     23
    .sgpr_spill_count: 0
    .symbol:         _Z12kernel_alignfPKiPKlPKjS0_iPii.kd
    .uniform_work_group_size: 1
    .uses_dynamic_stack: false
    .vgpr_count:     75
    .vgpr_spill_count: 0
    .wavefront_size: 32
    .workgroup_processor_mode: 1
amdhsa.target:   amdgcn-amd-amdhsa--gfx1030
amdhsa.version:
  - 1
  - 2
...

	.end_amdgpu_metadata
